;; amdgpu-corpus repo=ROCm/rocFFT kind=compiled arch=gfx950 opt=O3
	.text
	.amdgcn_target "amdgcn-amd-amdhsa--gfx950"
	.amdhsa_code_object_version 6
	.protected	bluestein_single_back_len1144_dim1_half_op_CI_CI ; -- Begin function bluestein_single_back_len1144_dim1_half_op_CI_CI
	.globl	bluestein_single_back_len1144_dim1_half_op_CI_CI
	.p2align	8
	.type	bluestein_single_back_len1144_dim1_half_op_CI_CI,@function
bluestein_single_back_len1144_dim1_half_op_CI_CI: ; @bluestein_single_back_len1144_dim1_half_op_CI_CI
; %bb.0:
	s_load_dwordx4 s[4:7], s[0:1], 0x28
	v_mul_u32_u24_e32 v1, 0x277, v0
	v_add_u32_sdwa v26, s2, v1 dst_sel:DWORD dst_unused:UNUSED_PAD src0_sel:DWORD src1_sel:WORD_1
	v_mov_b32_e32 v27, 0
	s_waitcnt lgkmcnt(0)
	v_cmp_gt_u64_e32 vcc, s[4:5], v[26:27]
	s_and_saveexec_b64 s[2:3], vcc
	s_cbranch_execz .LBB0_23
; %bb.1:
	s_load_dwordx2 s[12:13], s[0:1], 0x0
	s_load_dwordx2 s[14:15], s[0:1], 0x38
	s_movk_i32 s2, 0x68
	v_mul_lo_u16_sdwa v1, v1, s2 dst_sel:DWORD dst_unused:UNUSED_PAD src0_sel:WORD_1 src1_sel:DWORD
	v_sub_u16_e32 v19, v0, v1
	s_movk_i32 s2, 0x58
	v_cmp_gt_u16_e64 s[4:5], s2, v19
	v_lshlrev_b32_e32 v24, 2, v19
	s_and_saveexec_b64 s[2:3], s[4:5]
	s_cbranch_execz .LBB0_3
; %bb.2:
	s_load_dwordx2 s[8:9], s[0:1], 0x18
	v_mov_b32_e32 v0, s6
	v_mov_b32_e32 v1, s7
	;; [unrolled: 1-line block ×3, first 2 shown]
	s_waitcnt lgkmcnt(0)
	s_load_dwordx4 s[8:11], s[8:9], 0x0
	s_waitcnt lgkmcnt(0)
	v_mad_u64_u32 v[2:3], s[6:7], s10, v26, 0
	v_mad_u64_u32 v[4:5], s[6:7], s8, v19, 0
	v_mov_b32_e32 v6, v3
	v_mov_b32_e32 v8, v5
	v_mad_u64_u32 v[6:7], s[6:7], s11, v26, v[6:7]
	v_mov_b32_e32 v3, v6
	v_mad_u64_u32 v[6:7], s[6:7], s9, v19, v[8:9]
	v_mov_b32_e32 v5, v6
	v_lshl_add_u64 v[0:1], v[2:3], 2, v[0:1]
	v_lshl_add_u64 v[0:1], v[4:5], 2, v[0:1]
	global_load_dword v4, v[0:1], off
	v_mov_b32_e32 v5, 0x160
	global_load_dword v6, v24, s[12:13]
	v_mad_u64_u32 v[0:1], s[6:7], s8, v5, v[0:1]
	s_mulk_i32 s9, 0x160
	v_add_u32_e32 v1, s9, v1
	global_load_dword v7, v[0:1], off
	global_load_dword v8, v24, s[12:13] offset:352
	v_mad_u64_u32 v[0:1], s[6:7], s8, v5, v[0:1]
	v_add_u32_e32 v1, s9, v1
	global_load_dword v9, v[0:1], off
	global_load_dword v10, v24, s[12:13] offset:704
	v_mad_u64_u32 v[0:1], s[6:7], s8, v5, v[0:1]
	;; [unrolled: 4-line block ×7, first 2 shown]
	v_add_u32_e32 v1, s9, v1
	global_load_dword v22, v[0:1], off
	global_load_dword v23, v24, s[12:13] offset:2816
	global_load_dword v27, v24, s[12:13] offset:3168
	;; [unrolled: 1-line block ×4, first 2 shown]
	v_mad_u64_u32 v[0:1], s[6:7], s8, v5, v[0:1]
	v_add_u32_e32 v1, s9, v1
	v_lshl_add_u64 v[2:3], s[12:13], 0, v[24:25]
	global_load_dword v25, v[0:1], off
	v_mad_u64_u32 v[0:1], s[6:7], s8, v5, v[0:1]
	v_add_u32_e32 v1, s9, v1
	global_load_dword v30, v[0:1], off
	v_add_co_u32_e32 v2, vcc, 0x1000, v2
	v_mad_u64_u32 v[0:1], s[6:7], s8, v5, v[0:1]
	s_nop 0
	v_addc_co_u32_e32 v3, vcc, 0, v3, vcc
	v_add_u32_e32 v1, s9, v1
	global_load_dword v2, v[2:3], off offset:128
	s_nop 0
	global_load_dword v3, v[0:1], off
	v_mad_u64_u32 v[0:1], s[6:7], s8, v5, v[0:1]
	v_add_u32_e32 v1, s9, v1
	global_load_dword v0, v[0:1], off
	s_waitcnt vmcnt(25)
	v_lshrrev_b32_e32 v1, 16, v4
	s_waitcnt vmcnt(24)
	v_mul_f16_sdwa v5, v6, v4 dst_sel:DWORD dst_unused:UNUSED_PAD src0_sel:WORD_1 src1_sel:DWORD
	v_mul_f16_sdwa v31, v6, v1 dst_sel:DWORD dst_unused:UNUSED_PAD src0_sel:WORD_1 src1_sel:DWORD
	v_fma_f16 v1, v6, v1, -v5
	v_fma_f16 v4, v6, v4, v31
	s_waitcnt vmcnt(23)
	v_lshrrev_b32_e32 v5, 16, v7
	s_waitcnt vmcnt(22)
	v_mul_f16_sdwa v6, v8, v7 dst_sel:DWORD dst_unused:UNUSED_PAD src0_sel:WORD_1 src1_sel:DWORD
	v_pack_b32_f16 v1, v4, v1
	v_mul_f16_sdwa v4, v8, v5 dst_sel:DWORD dst_unused:UNUSED_PAD src0_sel:WORD_1 src1_sel:DWORD
	v_fma_f16 v5, v8, v5, -v6
	v_fma_f16 v4, v8, v7, v4
	s_waitcnt vmcnt(21)
	v_lshrrev_b32_e32 v6, 16, v9
	v_pack_b32_f16 v4, v4, v5
	ds_write2_b32 v24, v1, v4 offset1:88
	s_waitcnt vmcnt(20)
	v_mul_f16_sdwa v1, v10, v6 dst_sel:DWORD dst_unused:UNUSED_PAD src0_sel:WORD_1 src1_sel:DWORD
	v_mul_f16_sdwa v4, v10, v9 dst_sel:DWORD dst_unused:UNUSED_PAD src0_sel:WORD_1 src1_sel:DWORD
	v_fma_f16 v1, v10, v9, v1
	v_fma_f16 v4, v10, v6, -v4
	v_pack_b32_f16 v1, v1, v4
	s_waitcnt vmcnt(19)
	v_lshrrev_b32_e32 v4, 16, v11
	s_waitcnt vmcnt(18)
	v_mul_f16_sdwa v5, v12, v4 dst_sel:DWORD dst_unused:UNUSED_PAD src0_sel:WORD_1 src1_sel:DWORD
	v_mul_f16_sdwa v6, v12, v11 dst_sel:DWORD dst_unused:UNUSED_PAD src0_sel:WORD_1 src1_sel:DWORD
	v_fma_f16 v5, v12, v11, v5
	v_fma_f16 v4, v12, v4, -v6
	v_pack_b32_f16 v4, v5, v4
	v_add_u32_e32 v5, 0x200, v24
	ds_write2_b32 v5, v1, v4 offset0:48 offset1:136
	s_waitcnt vmcnt(17)
	v_lshrrev_b32_e32 v1, 16, v13
	s_waitcnt vmcnt(16)
	v_mul_f16_sdwa v4, v14, v1 dst_sel:DWORD dst_unused:UNUSED_PAD src0_sel:WORD_1 src1_sel:DWORD
	v_mul_f16_sdwa v5, v14, v13 dst_sel:DWORD dst_unused:UNUSED_PAD src0_sel:WORD_1 src1_sel:DWORD
	v_fma_f16 v4, v14, v13, v4
	v_fma_f16 v1, v14, v1, -v5
	v_pack_b32_f16 v1, v4, v1
	s_waitcnt vmcnt(15)
	v_lshrrev_b32_e32 v4, 16, v15
	s_waitcnt vmcnt(14)
	v_mul_f16_sdwa v5, v16, v4 dst_sel:DWORD dst_unused:UNUSED_PAD src0_sel:WORD_1 src1_sel:DWORD
	v_mul_f16_sdwa v6, v16, v15 dst_sel:DWORD dst_unused:UNUSED_PAD src0_sel:WORD_1 src1_sel:DWORD
	v_fma_f16 v5, v16, v15, v5
	v_fma_f16 v4, v16, v4, -v6
	v_pack_b32_f16 v4, v5, v4
	v_add_u32_e32 v5, 0x400, v24
	ds_write2_b32 v5, v1, v4 offset0:96 offset1:184
	s_waitcnt vmcnt(13)
	v_lshrrev_b32_e32 v1, 16, v17
	s_waitcnt vmcnt(12)
	v_mul_f16_sdwa v4, v18, v1 dst_sel:DWORD dst_unused:UNUSED_PAD src0_sel:WORD_1 src1_sel:DWORD
	v_mul_f16_sdwa v5, v18, v17 dst_sel:DWORD dst_unused:UNUSED_PAD src0_sel:WORD_1 src1_sel:DWORD
	v_fma_f16 v4, v18, v17, v4
	v_fma_f16 v1, v18, v1, -v5
	v_pack_b32_f16 v1, v4, v1
	s_waitcnt vmcnt(11)
	v_lshrrev_b32_e32 v4, 16, v20
	s_waitcnt vmcnt(10)
	v_mul_f16_sdwa v5, v21, v4 dst_sel:DWORD dst_unused:UNUSED_PAD src0_sel:WORD_1 src1_sel:DWORD
	v_mul_f16_sdwa v6, v21, v20 dst_sel:DWORD dst_unused:UNUSED_PAD src0_sel:WORD_1 src1_sel:DWORD
	v_fma_f16 v5, v21, v20, v5
	v_fma_f16 v4, v21, v4, -v6
	v_pack_b32_f16 v4, v5, v4
	v_add_u32_e32 v5, 0x800, v24
	ds_write2_b32 v5, v1, v4 offset0:16 offset1:104
	s_waitcnt vmcnt(9)
	v_lshrrev_b32_e32 v1, 16, v22
	s_waitcnt vmcnt(8)
	v_mul_f16_sdwa v4, v23, v1 dst_sel:DWORD dst_unused:UNUSED_PAD src0_sel:WORD_1 src1_sel:DWORD
	v_mul_f16_sdwa v5, v23, v22 dst_sel:DWORD dst_unused:UNUSED_PAD src0_sel:WORD_1 src1_sel:DWORD
	v_fma_f16 v4, v23, v22, v4
	v_fma_f16 v1, v23, v1, -v5
	v_pack_b32_f16 v1, v4, v1
	s_waitcnt vmcnt(4)
	v_lshrrev_b32_e32 v4, 16, v25
	v_mul_f16_sdwa v5, v27, v4 dst_sel:DWORD dst_unused:UNUSED_PAD src0_sel:WORD_1 src1_sel:DWORD
	v_mul_f16_sdwa v6, v27, v25 dst_sel:DWORD dst_unused:UNUSED_PAD src0_sel:WORD_1 src1_sel:DWORD
	v_fma_f16 v5, v27, v25, v5
	v_fma_f16 v4, v27, v4, -v6
	v_pack_b32_f16 v4, v5, v4
	v_add_u32_e32 v5, 0xa00, v24
	ds_write2_b32 v5, v1, v4 offset0:64 offset1:152
	s_waitcnt vmcnt(3)
	v_lshrrev_b32_e32 v1, 16, v30
	v_mul_f16_sdwa v4, v28, v1 dst_sel:DWORD dst_unused:UNUSED_PAD src0_sel:WORD_1 src1_sel:DWORD
	v_mul_f16_sdwa v5, v28, v30 dst_sel:DWORD dst_unused:UNUSED_PAD src0_sel:WORD_1 src1_sel:DWORD
	v_fma_f16 v4, v28, v30, v4
	v_fma_f16 v1, v28, v1, -v5
	v_pack_b32_f16 v1, v4, v1
	s_waitcnt vmcnt(1)
	v_lshrrev_b32_e32 v4, 16, v3
	v_mul_f16_sdwa v5, v29, v4 dst_sel:DWORD dst_unused:UNUSED_PAD src0_sel:WORD_1 src1_sel:DWORD
	v_fma_f16 v5, v29, v3, v5
	v_mul_f16_sdwa v3, v29, v3 dst_sel:DWORD dst_unused:UNUSED_PAD src0_sel:WORD_1 src1_sel:DWORD
	v_fma_f16 v3, v29, v4, -v3
	v_pack_b32_f16 v3, v5, v3
	v_add_u32_e32 v4, 0xc00, v24
	ds_write2_b32 v4, v1, v3 offset0:112 offset1:200
	s_waitcnt vmcnt(0)
	v_lshrrev_b32_e32 v1, 16, v0
	v_mul_f16_sdwa v3, v2, v1 dst_sel:DWORD dst_unused:UNUSED_PAD src0_sel:WORD_1 src1_sel:DWORD
	v_fma_f16 v3, v2, v0, v3
	v_mul_f16_sdwa v0, v2, v0 dst_sel:DWORD dst_unused:UNUSED_PAD src0_sel:WORD_1 src1_sel:DWORD
	v_fma_f16 v0, v2, v1, -v0
	v_pack_b32_f16 v0, v3, v0
	ds_write_b32 v24, v0 offset:4224
.LBB0_3:
	s_or_b64 exec, exec, s[2:3]
	s_load_dwordx2 s[2:3], s[0:1], 0x20
	s_load_dwordx2 s[6:7], s[0:1], 0x8
	v_mov_b32_e32 v0, 0
	s_waitcnt lgkmcnt(0)
	s_barrier
	s_waitcnt lgkmcnt(0)
                                        ; implicit-def: $vgpr27
                                        ; implicit-def: $vgpr18
                                        ; implicit-def: $vgpr11
                                        ; implicit-def: $vgpr20
                                        ; implicit-def: $vgpr22
                                        ; implicit-def: $vgpr9
                                        ; implicit-def: $vgpr28
                                        ; implicit-def: $vgpr29
                                        ; implicit-def: $vgpr5
                                        ; implicit-def: $vgpr21
                                        ; implicit-def: $vgpr12
                                        ; implicit-def: $vgpr3
                                        ; implicit-def: $vgpr13
                                        ; implicit-def: $vgpr15
                                        ; implicit-def: $vgpr7
                                        ; implicit-def: $vgpr16
                                        ; implicit-def: $vgpr17
                                        ; implicit-def: $vgpr14
	s_and_saveexec_b64 s[0:1], s[4:5]
	s_cbranch_execz .LBB0_5
; %bb.4:
	v_add_u32_e32 v2, 0x200, v24
	v_add_u32_e32 v3, 0x400, v24
	;; [unrolled: 1-line block ×5, first 2 shown]
	ds_read2_b32 v[0:1], v24 offset1:88
	ds_read2_b32 v[6:7], v2 offset0:48 offset1:136
	ds_read2_b32 v[2:3], v3 offset0:96 offset1:184
	;; [unrolled: 1-line block ×5, first 2 shown]
	ds_read_b32 v27, v24 offset:4224
	s_waitcnt lgkmcnt(6)
	v_lshrrev_b32_e32 v14, 16, v1
	s_waitcnt lgkmcnt(5)
	v_lshrrev_b32_e32 v17, 16, v6
	v_lshrrev_b32_e32 v16, 16, v7
	s_waitcnt lgkmcnt(4)
	v_lshrrev_b32_e32 v15, 16, v2
	;; [unrolled: 3-line block ×6, first 2 shown]
.LBB0_5:
	s_or_b64 exec, exec, s[0:1]
	v_sub_f16_e32 v75, v14, v18
	v_add_f16_e32 v42, v27, v1
	v_sub_f16_e32 v51, v1, v27
	s_movk_i32 s8, 0x3b15
	v_mul_f16_e32 v30, 0xb770, v75
	v_sub_f16_e32 v76, v17, v20
	v_add_f16_e32 v43, v18, v14
	v_mul_f16_e32 v33, 0xb770, v51
	v_fma_f16 v23, v42, s8, v30
	s_movk_i32 s9, 0x388b
	v_add_f16_e32 v49, v11, v6
	v_sub_f16_e32 v60, v6, v11
	v_mul_f16_e32 v34, 0xba95, v76
	v_add_f16_e32 v23, v23, v0
	v_fma_f16 v25, v43, s8, -v33
	v_mul_f16_e32 v36, 0xba95, v75
	v_add_f16_e32 v50, v20, v17
	v_mul_f16_e32 v35, 0xba95, v60
	v_fma_f16 v37, v49, s9, v34
	v_add_f16_sdwa v25, v25, v0 dst_sel:DWORD dst_unused:UNUSED_PAD src0_sel:DWORD src1_sel:WORD_1
	v_mul_f16_e32 v41, 0xba95, v51
	v_fma_f16 v31, v42, s9, v36
	v_add_f16_e32 v23, v37, v23
	v_fma_f16 v37, v50, s9, -v35
	s_mov_b32 s10, 0xb5ac
	v_mul_f16_e32 v39, 0xbb7b, v76
	v_add_f16_e32 v31, v31, v0
	v_fma_f16 v32, v43, s9, -v41
	v_add_f16_e32 v25, v37, v25
	v_mul_f16_e32 v47, 0xbb7b, v60
	v_fma_f16 v37, v49, s10, v39
	v_add_f16_sdwa v32, v32, v0 dst_sel:DWORD dst_unused:UNUSED_PAD src0_sel:DWORD src1_sel:WORD_1
	v_add_f16_e32 v31, v37, v31
	v_fma_f16 v37, v50, s10, -v47
	v_sub_f16_e32 v77, v16, v22
	v_add_f16_e32 v32, v37, v32
	v_add_f16_e32 v54, v10, v7
	v_sub_f16_e32 v65, v7, v10
	s_movk_i32 s11, 0x2fb7
	v_mul_f16_e32 v37, 0xbbf1, v77
	v_add_f16_e32 v55, v22, v16
	v_mul_f16_e32 v38, 0xbbf1, v65
	v_fma_f16 v40, v54, s11, v37
	v_add_f16_e32 v23, v40, v23
	v_fma_f16 v40, v55, s11, -v38
	s_mov_b32 s16, 0xbbc4
	v_mul_f16_e32 v44, 0xb3a8, v77
	v_add_f16_e32 v25, v40, v25
	v_mul_f16_e32 v52, 0xb3a8, v65
	v_fma_f16 v40, v54, s16, v44
	v_add_f16_e32 v31, v40, v31
	v_fma_f16 v40, v55, s16, -v52
	v_sub_f16_e32 v78, v15, v28
	v_add_f16_e32 v32, v40, v32
	v_add_f16_e32 v57, v9, v2
	v_mul_f16_e32 v40, 0xbb7b, v78
	v_sub_f16_e32 v70, v2, v9
	v_fma_f16 v45, v57, s10, v40
	v_add_f16_e32 v58, v28, v15
	v_add_f16_e32 v23, v45, v23
	v_mul_f16_e32 v45, 0xbb7b, v70
	v_fma_f16 v46, v58, s10, -v45
	s_mov_b32 s17, 0xb9fd
	v_mul_f16_e32 v53, 0x394e, v78
	v_add_f16_e32 v25, v46, v25
	v_fma_f16 v46, v57, s17, v53
	v_mul_f16_e32 v59, 0x394e, v70
	v_sub_f16_e32 v79, v13, v29
	v_add_f16_e32 v31, v46, v31
	v_fma_f16 v46, v58, s17, -v59
	v_add_f16_e32 v64, v8, v3
	v_mul_f16_e32 v48, 0xb94e, v79
	v_sub_f16_e32 v73, v3, v8
	v_add_f16_e32 v32, v46, v32
	v_fma_f16 v46, v64, s17, v48
	v_add_f16_e32 v67, v29, v13
	v_mul_f16_e32 v56, 0xb94e, v73
	v_add_f16_e32 v23, v46, v23
	v_fma_f16 v46, v67, s17, -v56
	v_mul_f16_e32 v62, 0x3bf1, v79
	v_add_f16_e32 v25, v46, v25
	v_fma_f16 v46, v64, s11, v62
	v_mul_f16_e32 v66, 0x3bf1, v73
	v_sub_f16_e32 v74, v4, v5
	v_add_f16_e32 v31, v46, v31
	v_fma_f16 v46, v67, s11, -v66
	v_add_f16_e32 v68, v21, v12
	v_mul_f16_e32 v61, 0xb3a8, v74
	v_add_f16_e32 v32, v46, v32
	v_fma_f16 v46, v68, s16, -v61
	v_mul_f16_e32 v69, 0x3770, v74
	v_sub_f16_e32 v80, v12, v21
	v_add_f16_e32 v25, v46, v25
	v_fma_f16 v46, v68, s8, -v69
	v_add_f16_e32 v72, v5, v4
	v_mul_f16_e32 v63, 0xb3a8, v80
	v_add_f16_e32 v46, v46, v32
	v_fma_f16 v32, v72, s16, v63
	v_mul_f16_e32 v71, 0x3770, v80
	v_add_f16_e32 v32, v32, v23
	v_fma_f16 v23, v72, s8, v71
	s_mov_b32 s26, 0xb770
	s_mov_b32 s18, 0xba95
	;; [unrolled: 1-line block ×5, first 2 shown]
	s_movk_i32 s24, 0x394e
	s_mov_b32 s19, 0xb94e
	s_movk_i32 s25, 0x3bf1
	s_movk_i32 s22, 0x3770
	v_add_f16_e32 v31, v23, v31
	v_mul_lo_u16_e32 v23, 13, v19
	s_barrier
	s_and_saveexec_b64 s[0:1], s[4:5]
	s_cbranch_execz .LBB0_7
; %bb.6:
	v_mul_f16_e32 v81, 0x2fb7, v43
	v_fma_f16 v82, v51, s25, v81
	v_mul_f16_e32 v83, 0xbbc4, v50
	s_movk_i32 s27, 0x33a8
	v_add_f16_sdwa v82, v82, v0 dst_sel:DWORD dst_unused:UNUSED_PAD src0_sel:DWORD src1_sel:WORD_1
	v_fma_f16 v84, v60, s27, v83
	v_add_f16_e32 v82, v84, v82
	v_mul_f16_e32 v84, 0xb5ac, v55
	v_fma_f16 v85, v65, s23, v84
	v_add_f16_e32 v82, v85, v82
	v_mul_f16_e32 v85, 0x3b15, v58
	;; [unrolled: 3-line block ×3, first 2 shown]
	s_movk_i32 s28, 0x3a95
	v_fma_f16 v87, v73, s28, v86
	v_add_f16_e32 v82, v87, v82
	v_mul_f16_e32 v87, 0xb9fd, v68
	v_fma_f16 v88, v74, s24, v87
	v_add_f16_e32 v82, v88, v82
	v_mul_f16_e32 v88, 0xbbf1, v75
	v_fma_f16 v89, v42, s11, v88
	v_mul_f16_e32 v90, 0xb3a8, v76
	v_add_f16_e32 v89, v89, v0
	v_fma_f16 v91, v49, s16, v90
	v_add_f16_e32 v89, v91, v89
	v_mul_f16_e32 v91, 0x3b7b, v77
	v_fma_f16 v92, v54, s10, v91
	v_add_f16_e32 v89, v92, v89
	v_mul_f16_e32 v92, 0x3770, v78
	v_fma_f16 v93, v57, s8, v92
	v_add_f16_e32 v89, v93, v89
	v_mul_f16_e32 v93, 0xba95, v79
	v_fma_f16 v94, v64, s9, v93
	v_add_f16_e32 v89, v94, v89
	v_mul_f16_e32 v94, 0xb94e, v80
	v_fma_f16 v95, v72, s17, v94
	v_add_f16_e32 v89, v95, v89
	s_movk_i32 s29, 0x3b7b
	v_mul_f16_e32 v95, 0xb5ac, v43
	v_fma_f16 v96, v51, s29, v95
	v_mul_f16_e32 v97, 0xb9fd, v50
	v_add_f16_sdwa v96, v96, v0 dst_sel:DWORD dst_unused:UNUSED_PAD src0_sel:DWORD src1_sel:WORD_1
	v_fma_f16 v98, v60, s19, v97
	v_add_f16_e32 v96, v98, v96
	v_mul_f16_e32 v98, 0x3b15, v55
	v_fma_f16 v99, v65, s26, v98
	v_add_f16_e32 v96, v99, v96
	v_mul_f16_e32 v99, 0x2fb7, v58
	;; [unrolled: 3-line block ×5, first 2 shown]
	v_fma_f16 v103, v42, s10, v102
	v_mul_f16_e32 v104, 0x394e, v76
	v_add_f16_e32 v103, v103, v0
	v_fma_f16 v105, v49, s17, v104
	v_add_f16_e32 v103, v105, v103
	v_mul_f16_e32 v105, 0x3770, v77
	v_fma_f16 v106, v54, s8, v105
	v_add_f16_e32 v103, v106, v103
	v_mul_f16_e32 v106, 0xbbf1, v78
	;; [unrolled: 3-line block ×5, first 2 shown]
	v_fma_f16 v110, v51, s24, v109
	v_mul_f16_e32 v111, 0x2fb7, v50
	v_add_f16_sdwa v110, v110, v0 dst_sel:DWORD dst_unused:UNUSED_PAD src0_sel:DWORD src1_sel:WORD_1
	v_fma_f16 v112, v60, s21, v111
	v_add_f16_e32 v110, v112, v110
	v_mul_f16_e32 v112, 0x388b, v55
	v_fma_f16 v113, v65, s28, v112
	v_add_f16_e32 v110, v113, v110
	v_mul_f16_e32 v113, 0xbbc4, v58
	;; [unrolled: 3-line block ×5, first 2 shown]
	v_fma_f16 v117, v42, s17, v116
	v_mul_f16_e32 v118, 0x3bf1, v76
	v_add_f16_e32 v117, v117, v0
	v_fma_f16 v119, v49, s11, v118
	v_add_f16_e32 v117, v119, v117
	v_mul_f16_e32 v119, 0xba95, v77
	v_fma_f16 v120, v54, s9, v119
	v_add_f16_e32 v117, v120, v117
	v_mul_f16_e32 v120, 0x33a8, v78
	;; [unrolled: 3-line block ×5, first 2 shown]
	v_fma_f16 v124, v51, s27, v123
	v_mul_f16_e32 v125, 0x3b15, v50
	v_add_f16_sdwa v124, v124, v0 dst_sel:DWORD dst_unused:UNUSED_PAD src0_sel:DWORD src1_sel:WORD_1
	v_fma_f16 v126, v60, s26, v125
	v_add_f16_e32 v124, v126, v124
	v_mul_f16_e32 v126, 0xb9fd, v55
	v_fma_f16 v127, v65, s24, v126
	v_add_f16_e32 v124, v127, v124
	v_mul_f16_e32 v127, 0x388b, v58
	;; [unrolled: 3-line block ×4, first 2 shown]
	v_fma_f16 v130, v74, s21, v129
	v_mul_f16_e32 v75, 0xb3a8, v75
	v_add_f16_e32 v124, v130, v124
	v_fma_f16 v130, v42, s16, v75
	v_mul_f16_e32 v76, 0x3770, v76
	v_fma_f16 v75, v42, s16, -v75
	v_fma_f16 v131, v49, s8, v76
	v_mul_f16_e32 v77, 0xb94e, v77
	v_add_f16_e32 v75, v75, v0
	v_fma_f16 v76, v49, s8, -v76
	v_mul_f16_e32 v78, 0x3a95, v78
	v_add_f16_e32 v75, v76, v75
	v_fma_f16 v76, v54, s17, -v77
	;; [unrolled: 3-line block ×4, first 2 shown]
	v_add_f16_e32 v75, v76, v75
	v_fma_f16 v76, v72, s11, -v80
	v_add_f16_e32 v130, v130, v0
	v_add_f16_e32 v75, v76, v75
	v_fma_f16 v76, v51, s19, v109
	v_add_f16_e32 v130, v131, v130
	v_fma_f16 v131, v54, s17, v77
	v_add_f16_sdwa v76, v76, v0 dst_sel:DWORD dst_unused:UNUSED_PAD src0_sel:DWORD src1_sel:WORD_1
	v_fma_f16 v77, v60, s25, v111
	v_add_f16_e32 v76, v77, v76
	v_fma_f16 v77, v65, s18, v112
	v_add_f16_e32 v76, v77, v76
	;; [unrolled: 2-line block ×5, first 2 shown]
	v_fma_f16 v77, v42, s17, -v116
	v_add_f16_e32 v130, v131, v130
	v_fma_f16 v131, v57, s9, v78
	v_add_f16_e32 v77, v77, v0
	v_fma_f16 v78, v49, s11, -v118
	v_add_f16_e32 v77, v78, v77
	v_fma_f16 v78, v54, s9, -v119
	;; [unrolled: 2-line block ×5, first 2 shown]
	v_add_f16_e32 v77, v78, v77
	v_fma_f16 v78, v51, s23, v95
	v_add_f16_e32 v130, v131, v130
	v_fma_f16 v131, v64, s10, v79
	v_fma_f16 v123, v51, s20, v123
	v_add_f16_sdwa v78, v78, v0 dst_sel:DWORD dst_unused:UNUSED_PAD src0_sel:DWORD src1_sel:WORD_1
	v_fma_f16 v79, v60, s24, v97
	v_fma_f16 v51, v51, s21, v81
	;; [unrolled: 1-line block ×3, first 2 shown]
	v_add_f16_e32 v78, v79, v78
	v_fma_f16 v79, v65, s22, v98
	v_fma_f16 v60, v60, s20, v83
	v_add_f16_sdwa v51, v51, v0 dst_sel:DWORD dst_unused:UNUSED_PAD src0_sel:DWORD src1_sel:WORD_1
	v_add_f16_e32 v78, v79, v78
	v_fma_f16 v79, v70, s21, v99
	v_add_f16_e32 v51, v60, v51
	v_fma_f16 v60, v65, s29, v84
	;; [unrolled: 2-line block ×4, first 2 shown]
	v_add_f16_sdwa v123, v123, v0 dst_sel:DWORD dst_unused:UNUSED_PAD src0_sel:DWORD src1_sel:WORD_1
	v_add_f16_e32 v78, v79, v78
	v_fma_f16 v79, v74, s28, v101
	v_add_f16_e32 v51, v60, v51
	v_fma_f16 v60, v73, s18, v86
	v_add_f16_e32 v123, v125, v123
	v_fma_f16 v125, v65, s19, v126
	v_add_f16_e32 v78, v79, v78
	v_fma_f16 v79, v42, s10, -v102
	v_add_f16_e32 v51, v60, v51
	v_fma_f16 v65, v74, s19, v87
	v_add_f16_e32 v130, v131, v130
	v_fma_f16 v131, v72, s11, v80
	v_add_f16_e32 v123, v125, v123
	v_fma_f16 v125, v70, s28, v127
	v_add_f16_e32 v79, v79, v0
	v_fma_f16 v80, v49, s17, -v104
	v_mul_f16_e32 v60, 0x3b15, v42
	v_mul_f16_e32 v70, 0x3b15, v43
	v_add_f16_e32 v51, v65, v51
	v_mul_f16_e32 v65, 0x388b, v42
	v_mul_f16_e32 v43, 0x388b, v43
	v_add_f16_e32 v79, v80, v79
	v_fma_f16 v80, v54, s8, -v105
	v_fma_f16 v42, v42, s11, -v88
	v_add_f16_e32 v41, v41, v43
	v_sub_f16_e32 v36, v65, v36
	v_add_f16_e32 v33, v33, v70
	v_sub_f16_e32 v30, v60, v30
	v_add_f16_e32 v79, v80, v79
	v_fma_f16 v80, v57, s11, -v106
	v_add_f16_e32 v42, v42, v0
	v_add_f16_sdwa v41, v41, v0 dst_sel:DWORD dst_unused:UNUSED_PAD src0_sel:DWORD src1_sel:WORD_1
	v_add_f16_e32 v36, v36, v0
	v_add_f16_sdwa v33, v33, v0 dst_sel:DWORD dst_unused:UNUSED_PAD src0_sel:DWORD src1_sel:WORD_1
	v_add_f16_e32 v30, v30, v0
	v_add_f16_e32 v1, v1, v0
	v_add_f16_sdwa v0, v14, v0 dst_sel:DWORD dst_unused:UNUSED_PAD src0_sel:DWORD src1_sel:WORD_1
	v_add_f16_e32 v123, v125, v123
	v_fma_f16 v125, v73, s23, v128
	v_add_f16_e32 v79, v80, v79
	v_fma_f16 v80, v64, s16, -v107
	v_add_f16_e32 v1, v6, v1
	v_add_f16_e32 v0, v17, v0
	;; [unrolled: 1-line block ×3, first 2 shown]
	v_fma_f16 v125, v74, s25, v129
	v_add_f16_e32 v79, v80, v79
	v_fma_f16 v80, v72, s9, -v108
	v_fma_f16 v74, v49, s16, -v90
	v_add_f16_e32 v1, v7, v1
	v_add_f16_e32 v0, v16, v0
	;; [unrolled: 1-line block ×4, first 2 shown]
	v_fma_f16 v80, v54, s10, -v91
	v_add_f16_e32 v1, v2, v1
	v_add_f16_e32 v0, v15, v0
	;; [unrolled: 1-line block ×3, first 2 shown]
	v_fma_f16 v81, v57, s8, -v92
	v_add_f16_e32 v1, v3, v1
	v_add_f16_e32 v0, v13, v0
	v_mul_f16_e32 v73, 0x388b, v49
	v_mul_f16_e32 v74, 0x388b, v50
	v_add_f16_e32 v42, v81, v42
	v_fma_f16 v83, v64, s9, -v93
	v_add_f16_e32 v1, v4, v1
	v_add_f16_e32 v0, v12, v0
	v_mul_f16_e32 v49, 0xb5ac, v49
	v_mul_f16_e32 v50, 0xb5ac, v50
	;; [unrolled: 1-line block ×4, first 2 shown]
	v_add_f16_e32 v42, v83, v42
	v_fma_f16 v84, v72, s17, -v94
	v_add_f16_e32 v35, v35, v74
	v_sub_f16_e32 v34, v73, v34
	v_add_f16_e32 v1, v5, v1
	v_add_f16_e32 v0, v21, v0
	v_mul_f16_e32 v54, 0xbbc4, v54
	v_mul_f16_e32 v55, 0xbbc4, v55
	;; [unrolled: 1-line block ×3, first 2 shown]
	v_add_f16_e32 v42, v84, v42
	v_mul_f16_e32 v84, 0xb5ac, v58
	v_add_f16_e32 v47, v47, v50
	v_sub_f16_e32 v39, v49, v39
	v_add_f16_e32 v33, v35, v33
	v_add_f16_e32 v35, v38, v81
	;; [unrolled: 1-line block ×3, first 2 shown]
	v_sub_f16_e32 v34, v80, v37
	v_add_f16_e32 v1, v8, v1
	v_add_f16_e32 v0, v29, v0
	v_mul_f16_e32 v57, 0xb9fd, v57
	v_mul_f16_e32 v58, 0xb9fd, v58
	;; [unrolled: 1-line block ×4, first 2 shown]
	v_add_f16_e32 v41, v47, v41
	v_add_f16_e32 v52, v52, v55
	;; [unrolled: 1-line block ×3, first 2 shown]
	v_sub_f16_e32 v39, v54, v44
	v_add_f16_e32 v33, v35, v33
	v_add_f16_e32 v35, v45, v84
	v_add_f16_e32 v30, v34, v30
	v_sub_f16_e32 v34, v83, v40
	v_add_f16_e32 v1, v9, v1
	v_add_f16_e32 v0, v28, v0
	v_mul_f16_e32 v64, 0x2fb7, v64
	v_mul_f16_e32 v67, 0x2fb7, v67
	;; [unrolled: 1-line block ×4, first 2 shown]
	v_add_f16_e32 v41, v52, v41
	v_add_f16_e32 v52, v59, v58
	;; [unrolled: 1-line block ×3, first 2 shown]
	v_sub_f16_e32 v39, v57, v53
	v_add_f16_e32 v33, v35, v33
	v_add_f16_e32 v35, v56, v50
	;; [unrolled: 1-line block ×3, first 2 shown]
	v_sub_f16_e32 v34, v43, v48
	v_add_f16_e32 v1, v10, v1
	v_add_f16_e32 v0, v22, v0
	v_mul_f16_e32 v72, 0x3b15, v72
	v_mul_f16_e32 v68, 0x3b15, v68
	v_add_f16_e32 v41, v52, v41
	v_add_f16_e32 v52, v66, v67
	v_add_f16_e32 v36, v39, v36
	v_sub_f16_e32 v39, v64, v62
	v_add_f16_e32 v33, v35, v33
	v_add_f16_e32 v35, v61, v55
	;; [unrolled: 1-line block ×3, first 2 shown]
	v_sub_f16_e32 v34, v47, v63
	v_add_f16_e32 v1, v11, v1
	v_add_f16_e32 v0, v20, v0
	;; [unrolled: 1-line block ×5, first 2 shown]
	v_sub_f16_e32 v39, v72, v71
	v_add_f16_e32 v33, v35, v33
	v_add_f16_e32 v30, v34, v30
	;; [unrolled: 1-line block ×6, first 2 shown]
	v_lshlrev_b32_e32 v2, 2, v23
	v_pack_b32_f16 v3, v30, v33
	v_pack_b32_f16 v0, v1, v0
	ds_write2_b32 v2, v0, v3 offset1:1
	v_pack_b32_f16 v0, v36, v41
	v_pack_b32_f16 v1, v42, v51
	v_add_f16_e32 v130, v131, v130
	v_add_f16_e32 v123, v125, v123
	ds_write2_b32 v2, v0, v1 offset0:2 offset1:3
	v_pack_b32_f16 v0, v77, v76
	v_pack_b32_f16 v1, v79, v78
	ds_write2_b32 v2, v1, v0 offset0:4 offset1:5
	v_pack_b32_f16 v0, v130, v124
	v_pack_b32_f16 v1, v75, v123
	;; [unrolled: 3-line block ×3, first 2 shown]
	s_mov_b32 s8, 0x5040100
	ds_write2_b32 v2, v1, v0 offset0:8 offset1:9
	v_pack_b32_f16 v0, v89, v82
	v_perm_b32 v1, v46, v31, s8
	ds_write2_b32 v2, v0, v1 offset0:10 offset1:11
	v_perm_b32 v0, v25, v32, s8
	ds_write_b32 v2, v0 offset:48
.LBB0_7:
	s_or_b64 exec, exec, s[0:1]
	s_movk_i32 s0, 0x4f
	v_mul_lo_u16_sdwa v0, v19, s0 dst_sel:DWORD dst_unused:UNUSED_PAD src0_sel:BYTE_0 src1_sel:DWORD
	v_lshrrev_b16_e32 v1, 10, v0
	v_mul_lo_u16_e32 v0, 13, v1
	v_sub_u16_e32 v0, v19, v0
	v_and_b32_e32 v18, 0xff, v0
	v_mul_u32_u24_e32 v0, 10, v18
	v_lshlrev_b32_e32 v0, 2, v0
	s_load_dwordx4 s[8:11], s[2:3], 0x0
	s_waitcnt lgkmcnt(0)
	s_barrier
	global_load_dwordx4 v[4:7], v0, s[6:7]
	global_load_dwordx4 v[8:11], v0, s[6:7] offset:16
	global_load_dwordx2 v[28:29], v0, s[6:7] offset:32
	ds_read2_b32 v[2:3], v24 offset1:104
	v_add_u32_e32 v12, 0x200, v24
	v_add_u32_e32 v0, 0x600, v24
	;; [unrolled: 1-line block ×4, first 2 shown]
	ds_read_b32 v22, v24 offset:4160
	ds_read2_b32 v[12:13], v12 offset0:80 offset1:184
	ds_read2_b32 v[14:15], v0 offset0:32 offset1:136
	;; [unrolled: 1-line block ×4, first 2 shown]
	s_waitcnt lgkmcnt(5)
	v_lshrrev_b32_e32 v27, 16, v3
	s_waitcnt lgkmcnt(3)
	v_lshrrev_b32_e32 v33, 16, v12
	v_lshrrev_b32_e32 v34, 16, v13
	s_waitcnt lgkmcnt(2)
	v_lshrrev_b32_e32 v35, 16, v14
	;; [unrolled: 3-line block ×4, first 2 shown]
	v_lshrrev_b32_e32 v30, 16, v22
	v_lshrrev_b32_e32 v40, 16, v21
	s_movk_i32 s2, 0x3abb
	s_movk_i32 s0, 0x36a6
	s_mov_b32 s1, 0xb08e
	s_mov_b32 s3, 0xb93d
	s_mov_b32 s16, 0xbbad
	v_mul_u32_u24_e32 v1, 0x8f, v1
	s_barrier
	v_add_u32_e32 v66, 0x400, v24
	s_waitcnt vmcnt(2)
	v_mul_f16_sdwa v41, v27, v4 dst_sel:DWORD dst_unused:UNUSED_PAD src0_sel:DWORD src1_sel:WORD_1
	v_mul_f16_sdwa v42, v3, v4 dst_sel:DWORD dst_unused:UNUSED_PAD src0_sel:DWORD src1_sel:WORD_1
	;; [unrolled: 1-line block ×4, first 2 shown]
	v_fma_f16 v3, v3, v4, -v41
	v_fma_f16 v27, v27, v4, v42
	v_mul_f16_sdwa v45, v34, v6 dst_sel:DWORD dst_unused:UNUSED_PAD src0_sel:DWORD src1_sel:WORD_1
	v_mul_f16_sdwa v47, v13, v6 dst_sel:DWORD dst_unused:UNUSED_PAD src0_sel:DWORD src1_sel:WORD_1
	v_fma_f16 v12, v12, v5, -v43
	v_fma_f16 v33, v33, v5, v44
	v_add_f16_e32 v41, v2, v3
	v_add_f16_sdwa v42, v2, v27 dst_sel:DWORD dst_unused:UNUSED_PAD src0_sel:WORD_1 src1_sel:DWORD
	v_mul_f16_sdwa v48, v35, v7 dst_sel:DWORD dst_unused:UNUSED_PAD src0_sel:DWORD src1_sel:WORD_1
	v_mul_f16_sdwa v49, v14, v7 dst_sel:DWORD dst_unused:UNUSED_PAD src0_sel:DWORD src1_sel:WORD_1
	v_fma_f16 v13, v13, v6, -v45
	v_fma_f16 v34, v34, v6, v47
	v_add_f16_e32 v41, v41, v12
	v_add_f16_e32 v42, v42, v33
	s_waitcnt vmcnt(1)
	v_mul_f16_sdwa v50, v36, v8 dst_sel:DWORD dst_unused:UNUSED_PAD src0_sel:DWORD src1_sel:WORD_1
	v_mul_f16_sdwa v52, v15, v8 dst_sel:DWORD dst_unused:UNUSED_PAD src0_sel:DWORD src1_sel:WORD_1
	v_fma_f16 v14, v14, v7, -v48
	v_fma_f16 v35, v35, v7, v49
	v_add_f16_e32 v41, v41, v13
	v_add_f16_e32 v42, v42, v34
	v_mul_f16_sdwa v53, v37, v9 dst_sel:DWORD dst_unused:UNUSED_PAD src0_sel:DWORD src1_sel:WORD_1
	v_mul_f16_sdwa v54, v16, v9 dst_sel:DWORD dst_unused:UNUSED_PAD src0_sel:DWORD src1_sel:WORD_1
	v_fma_f16 v15, v15, v8, -v50
	v_fma_f16 v36, v36, v8, v52
	v_add_f16_e32 v41, v41, v14
	v_add_f16_e32 v42, v42, v35
	;; [unrolled: 6-line block ×4, first 2 shown]
	s_waitcnt vmcnt(0)
	v_mul_f16_sdwa v59, v40, v28 dst_sel:DWORD dst_unused:UNUSED_PAD src0_sel:DWORD src1_sel:WORD_1
	v_mul_f16_sdwa v60, v21, v28 dst_sel:DWORD dst_unused:UNUSED_PAD src0_sel:DWORD src1_sel:WORD_1
	;; [unrolled: 1-line block ×4, first 2 shown]
	v_fma_f16 v20, v20, v11, -v57
	v_fma_f16 v39, v39, v11, v58
	v_add_f16_e32 v41, v41, v17
	v_add_f16_e32 v42, v42, v38
	v_fma_f16 v21, v21, v28, -v59
	v_fma_f16 v40, v40, v28, v60
	v_fma_f16 v22, v22, v29, -v61
	v_fma_f16 v30, v30, v29, v62
	v_add_f16_e32 v41, v41, v20
	v_add_f16_e32 v42, v42, v39
	;; [unrolled: 1-line block ×4, first 2 shown]
	v_sub_f16_e32 v3, v3, v22
	v_sub_f16_e32 v27, v27, v30
	v_add_f16_e32 v41, v41, v21
	v_add_f16_e32 v42, v42, v40
	v_mul_f16_e32 v45, 0xb853, v27
	v_add_f16_e32 v22, v41, v22
	v_add_f16_e32 v41, v42, v30
	v_mul_f16_e32 v42, 0xb853, v3
	v_mul_f16_e32 v48, 0xbb47, v27
	;; [unrolled: 1-line block ×9, first 2 shown]
	v_fma_f16 v30, v43, s2, -v45
	v_fma_f16 v47, v44, s2, v42
	v_fma_f16 v45, v43, s2, v45
	v_fma_f16 v42, v44, s2, -v42
	v_fma_f16 v49, v43, s0, -v48
	v_fma_f16 v52, v44, s0, v50
	v_fma_f16 v48, v43, s0, v48
	v_fma_f16 v50, v44, s0, -v50
	;; [unrolled: 4-line block ×5, first 2 shown]
	v_add_f16_e32 v30, v2, v30
	v_add_f16_sdwa v47, v2, v47 dst_sel:DWORD dst_unused:UNUSED_PAD src0_sel:WORD_1 src1_sel:DWORD
	v_add_f16_e32 v45, v2, v45
	v_add_f16_sdwa v42, v2, v42 dst_sel:DWORD dst_unused:UNUSED_PAD src0_sel:WORD_1 src1_sel:DWORD
	;; [unrolled: 2-line block ×10, first 2 shown]
	v_add_f16_e32 v3, v12, v21
	v_sub_f16_e32 v12, v12, v21
	v_sub_f16_e32 v21, v33, v40
	v_add_f16_e32 v43, v33, v40
	v_mul_f16_e32 v33, 0xbb47, v21
	v_fma_f16 v40, v3, s0, -v33
	v_add_f16_e32 v30, v40, v30
	v_mul_f16_e32 v40, 0xbb47, v12
	v_fma_f16 v44, v43, s0, v40
	v_fma_f16 v40, v43, s0, -v40
	v_fma_f16 v33, v3, s0, v33
	v_add_f16_e32 v40, v40, v42
	v_mul_f16_e32 v42, 0xba0c, v21
	v_add_f16_e32 v44, v44, v47
	v_add_f16_e32 v33, v33, v45
	v_fma_f16 v45, v3, s3, -v42
	v_mul_f16_e32 v47, 0xba0c, v12
	v_fma_f16 v42, v3, s3, v42
	v_add_f16_e32 v45, v45, v49
	v_fma_f16 v49, v43, s3, v47
	v_add_f16_e32 v42, v42, v48
	v_fma_f16 v47, v43, s3, -v47
	v_mul_f16_e32 v48, 0x3482, v21
	v_add_f16_e32 v49, v49, v52
	v_add_f16_e32 v47, v47, v50
	v_fma_f16 v50, v3, s16, -v48
	v_mul_f16_e32 v52, 0x3482, v12
	v_fma_f16 v48, v3, s16, v48
	v_add_f16_e32 v50, v50, v54
	v_fma_f16 v54, v43, s16, v52
	v_add_f16_e32 v48, v48, v53
	v_fma_f16 v52, v43, s16, -v52
	v_mul_f16_e32 v53, 0x3beb, v21
	v_add_f16_e32 v54, v54, v56
	v_add_f16_e32 v52, v52, v55
	v_fma_f16 v55, v3, s1, -v53
	v_mul_f16_e32 v56, 0x3beb, v12
	v_add_f16_e32 v55, v55, v58
	v_fma_f16 v58, v43, s1, v56
	v_fma_f16 v56, v43, s1, -v56
	v_mul_f16_e32 v12, 0x3853, v12
	v_fma_f16 v53, v3, s1, v53
	v_add_f16_e32 v56, v56, v59
	v_mul_f16_e32 v21, 0x3853, v21
	v_fma_f16 v59, v43, s2, v12
	v_fma_f16 v12, v43, s2, -v12
	v_add_f16_e32 v53, v53, v57
	v_fma_f16 v57, v3, s2, -v21
	v_fma_f16 v3, v3, s2, v21
	v_add_f16_e32 v2, v12, v2
	v_add_f16_e32 v12, v13, v20
	v_sub_f16_e32 v13, v13, v20
	v_sub_f16_e32 v20, v34, v39
	v_add_f16_e32 v3, v3, v27
	v_mul_f16_e32 v27, 0xbbeb, v20
	v_add_f16_e32 v21, v34, v39
	v_fma_f16 v34, v12, s1, -v27
	v_add_f16_e32 v30, v34, v30
	v_mul_f16_e32 v34, 0xbbeb, v13
	v_fma_f16 v27, v12, s1, v27
	v_fma_f16 v39, v21, s1, v34
	v_add_f16_e32 v27, v27, v33
	v_fma_f16 v33, v21, s1, -v34
	v_mul_f16_e32 v34, 0x3482, v20
	v_add_f16_e32 v33, v33, v40
	v_fma_f16 v40, v12, s16, -v34
	v_mul_f16_e32 v43, 0x3482, v13
	v_fma_f16 v34, v12, s16, v34
	v_add_f16_e32 v39, v39, v44
	v_fma_f16 v44, v21, s16, v43
	v_add_f16_e32 v34, v34, v42
	v_fma_f16 v42, v21, s16, -v43
	v_mul_f16_e32 v43, 0x3b47, v20
	v_add_f16_e32 v40, v40, v45
	v_fma_f16 v45, v12, s0, -v43
	v_fma_f16 v43, v12, s0, v43
	v_add_f16_e32 v42, v42, v47
	v_mul_f16_e32 v47, 0x3b47, v13
	v_add_f16_e32 v43, v43, v48
	v_mul_f16_e32 v48, 0xb853, v20
	v_add_f16_e32 v44, v44, v49
	v_add_f16_e32 v45, v45, v50
	v_fma_f16 v49, v21, s0, v47
	v_fma_f16 v47, v21, s0, -v47
	v_fma_f16 v50, v12, s2, -v48
	v_fma_f16 v48, v12, s2, v48
	v_mul_f16_e32 v20, 0xba0c, v20
	v_add_f16_e32 v47, v47, v52
	v_mul_f16_e32 v52, 0xb853, v13
	v_add_f16_e32 v48, v48, v53
	v_fma_f16 v53, v12, s3, -v20
	v_mul_f16_e32 v13, 0xba0c, v13
	v_fma_f16 v12, v12, s3, v20
	v_add_f16_e32 v3, v12, v3
	v_fma_f16 v12, v21, s3, -v13
	v_add_f16_e32 v2, v12, v2
	v_add_f16_e32 v12, v14, v17
	v_sub_f16_e32 v14, v14, v17
	v_sub_f16_e32 v17, v35, v38
	v_mul_f16_e32 v20, 0xba0c, v17
	v_add_f16_e32 v49, v49, v54
	v_add_f16_e32 v50, v50, v55
	v_fma_f16 v54, v21, s2, v52
	v_fma_f16 v52, v21, s2, -v52
	v_fma_f16 v55, v21, s3, v13
	v_fma_f16 v21, v12, s3, -v20
	v_add_f16_e32 v13, v35, v38
	v_add_f16_e32 v21, v21, v30
	v_mul_f16_e32 v30, 0xba0c, v14
	v_fma_f16 v20, v12, s3, v20
	v_fma_f16 v35, v13, s3, v30
	v_add_f16_e32 v20, v20, v27
	v_fma_f16 v27, v13, s3, -v30
	v_mul_f16_e32 v30, 0x3beb, v17
	v_add_f16_e32 v27, v27, v33
	v_fma_f16 v33, v12, s1, -v30
	v_mul_f16_e32 v38, 0x3beb, v14
	v_fma_f16 v30, v12, s1, v30
	v_add_f16_e32 v34, v30, v34
	v_fma_f16 v30, v13, s1, -v38
	v_add_f16_e32 v35, v35, v39
	v_fma_f16 v39, v13, s1, v38
	v_add_f16_e32 v38, v30, v42
	v_mul_f16_e32 v30, 0xb853, v17
	v_add_f16_e32 v33, v33, v40
	v_fma_f16 v40, v12, s2, -v30
	v_mul_f16_e32 v42, 0xb853, v14
	v_fma_f16 v30, v12, s2, v30
	v_add_f16_e32 v43, v30, v43
	v_fma_f16 v30, v13, s2, -v42
	v_add_f16_e32 v58, v58, v60
	v_add_f16_e32 v39, v39, v44
	v_fma_f16 v44, v13, s2, v42
	v_add_f16_e32 v42, v30, v47
	v_mul_f16_e32 v30, 0xb482, v17
	v_mul_f16_e32 v47, 0xb482, v14
	v_add_f16_e32 v54, v54, v58
	v_add_f16_e32 v40, v40, v45
	;; [unrolled: 1-line block ×3, first 2 shown]
	v_fma_f16 v45, v12, s16, -v30
	v_fma_f16 v49, v13, s16, v47
	v_fma_f16 v30, v12, s16, v30
	v_add_f16_e32 v52, v52, v56
	v_add_f16_e32 v45, v45, v50
	;; [unrolled: 1-line block ×4, first 2 shown]
	v_fma_f16 v30, v13, s16, -v47
	v_mul_f16_e32 v17, 0x3b47, v17
	v_add_f16_e32 v57, v57, v61
	v_add_f16_e32 v52, v30, v52
	v_fma_f16 v30, v12, s0, -v17
	v_mul_f16_e32 v14, 0x3b47, v14
	v_fma_f16 v12, v12, s0, v17
	v_add_f16_e32 v53, v53, v57
	v_add_f16_e32 v3, v12, v3
	v_fma_f16 v12, v13, s0, -v14
	v_add_f16_e32 v53, v30, v53
	v_fma_f16 v30, v13, s0, v14
	v_add_f16_e32 v2, v12, v2
	v_add_f16_e32 v12, v15, v16
	v_sub_f16_e32 v14, v15, v16
	v_sub_f16_e32 v15, v36, v37
	v_mul_f16_e32 v16, 0xb482, v15
	v_add_f16_e32 v59, v59, v62
	v_fma_f16 v17, v12, s16, -v16
	v_add_f16_e32 v55, v55, v59
	v_add_f16_e32 v13, v36, v37
	;; [unrolled: 1-line block ×3, first 2 shown]
	v_mul_f16_e32 v21, 0xb482, v14
	v_add_f16_e32 v55, v30, v55
	v_fma_f16 v30, v13, s16, v21
	v_fma_f16 v16, v12, s16, v16
	v_add_f16_e32 v36, v30, v35
	v_add_f16_e32 v30, v16, v20
	v_fma_f16 v16, v13, s16, -v21
	v_add_f16_e32 v48, v16, v27
	v_mul_f16_e32 v16, 0x3853, v15
	v_fma_f16 v20, v12, s2, -v16
	v_mul_f16_e32 v21, 0x3853, v14
	v_fma_f16 v16, v12, s2, v16
	v_fma_f16 v27, v13, s2, v21
	v_add_f16_e32 v35, v16, v34
	v_fma_f16 v16, v13, s2, -v21
	v_add_f16_e32 v20, v20, v33
	v_add_f16_e32 v33, v27, v39
	;; [unrolled: 1-line block ×3, first 2 shown]
	v_mul_f16_e32 v16, 0xba0c, v15
	v_mul_f16_e32 v27, 0xba0c, v14
	v_fma_f16 v21, v12, s3, -v16
	v_fma_f16 v34, v13, s3, v27
	v_fma_f16 v16, v12, s3, v16
	v_add_f16_e32 v37, v34, v44
	v_add_f16_e32 v34, v16, v43
	v_fma_f16 v16, v13, s3, -v27
	v_add_f16_e32 v47, v16, v42
	v_mul_f16_e32 v16, 0x3b47, v15
	v_fma_f16 v27, v12, s0, -v16
	v_add_f16_e32 v38, v27, v45
	v_mul_f16_e32 v27, 0x3b47, v14
	v_fma_f16 v39, v13, s0, v27
	v_fma_f16 v27, v13, s0, -v27
	v_mul_f16_e32 v15, 0xbbeb, v15
	v_add_f16_e32 v21, v21, v40
	v_fma_f16 v16, v12, s0, v16
	v_add_f16_e32 v40, v27, v52
	v_fma_f16 v27, v12, s1, -v15
	v_mul_f16_e32 v14, 0xbbeb, v14
	v_fma_f16 v12, v12, s1, v15
	v_add_f16_e32 v42, v27, v53
	v_fma_f16 v27, v13, s1, v14
	v_add_f16_e32 v3, v12, v3
	v_fma_f16 v12, v13, s1, -v14
	v_add_f16_e32 v43, v27, v55
	v_add_f16_e32 v2, v12, v2
	v_add_lshl_u32 v27, v1, v18, 2
	v_pack_b32_f16 v1, v22, v41
	v_pack_b32_f16 v12, v17, v36
	v_add_f16_e32 v39, v39, v50
	ds_write2_b32 v27, v1, v12 offset1:13
	v_pack_b32_f16 v1, v20, v33
	v_pack_b32_f16 v12, v21, v37
	v_add_f16_e32 v16, v16, v54
	ds_write2_b32 v27, v1, v12 offset0:26 offset1:39
	v_pack_b32_f16 v1, v38, v39
	v_pack_b32_f16 v12, v42, v43
	ds_write2_b32 v27, v1, v12 offset0:52 offset1:65
	v_pack_b32_f16 v1, v3, v2
	v_pack_b32_f16 v2, v16, v40
	;; [unrolled: 3-line block ×3, first 2 shown]
	ds_write2_b32 v27, v1, v2 offset0:104 offset1:117
	v_pack_b32_f16 v1, v30, v48
	ds_write_b32 v27, v1 offset:520
	s_waitcnt lgkmcnt(0)
	s_barrier
	ds_read2_b32 v[36:37], v24 offset1:143
	ds_read2_b32 v[44:45], v66 offset0:30 offset1:173
	ds_read2_b32 v[42:43], v65 offset0:60 offset1:203
	ds_read2_b32 v[40:41], v51 offset0:90 offset1:233
	v_cmp_gt_u16_e64 s[2:3], 39, v19
                                        ; implicit-def: $vgpr39
                                        ; implicit-def: $vgpr50
                                        ; implicit-def: $vgpr52
                                        ; implicit-def: $vgpr53
	s_and_saveexec_b64 s[0:1], s[2:3]
	s_cbranch_execz .LBB0_9
; %bb.8:
	ds_read2_b32 v[34:35], v24 offset0:104 offset1:247
	ds_read2_b32 v[30:31], v0 offset0:6 offset1:149
	v_add_u32_e32 v0, 0xa00, v24
	ds_read2_b32 v[32:33], v0 offset0:36 offset1:179
	v_add_u32_e32 v0, 0xe00, v24
	ds_read2_b32 v[38:39], v0 offset0:66 offset1:209
	s_waitcnt lgkmcnt(3)
	v_lshrrev_b32_e32 v47, 16, v34
	v_lshrrev_b32_e32 v49, 16, v35
	s_waitcnt lgkmcnt(2)
	v_lshrrev_b32_e32 v48, 16, v30
	v_lshrrev_b32_e32 v46, 16, v31
	;; [unrolled: 3-line block ×4, first 2 shown]
.LBB0_9:
	s_or_b64 exec, exec, s[0:1]
	v_mad_u64_u32 v[0:1], s[0:1], v19, 28, s[6:7]
	global_load_dwordx4 v[12:15], v[0:1], off offset:520
	global_load_dwordx3 v[20:22], v[0:1], off offset:536
	v_add_u32_e32 v0, 0x68, v19
	v_subrev_u32_e32 v1, 39, v19
	v_cndmask_b32_e64 v0, v1, v0, s[2:3]
	v_mul_hi_i32_i24_e32 v1, 28, v0
	v_mul_i32_i24_e32 v0, 28, v0
	v_lshl_add_u64 v[54:55], s[6:7], 0, v[0:1]
	global_load_dwordx4 v[0:3], v[54:55], off offset:520
	global_load_dwordx3 v[16:18], v[54:55], off offset:536
	s_waitcnt lgkmcnt(2)
	v_lshrrev_b32_e32 v57, 16, v45
	s_waitcnt lgkmcnt(0)
	v_lshrrev_b32_e32 v61, 16, v41
	v_lshrrev_b32_e32 v55, 16, v37
	;; [unrolled: 1-line block ×7, first 2 shown]
	s_mov_b32 s0, 0xb9a8
	s_movk_i32 s1, 0x39a8
	s_waitcnt vmcnt(3)
	v_mul_f16_sdwa v63, v37, v12 dst_sel:DWORD dst_unused:UNUSED_PAD src0_sel:DWORD src1_sel:WORD_1
	v_mul_f16_sdwa v67, v44, v13 dst_sel:DWORD dst_unused:UNUSED_PAD src0_sel:DWORD src1_sel:WORD_1
	;; [unrolled: 1-line block ×5, first 2 shown]
	s_waitcnt vmcnt(2)
	v_mul_f16_sdwa v73, v43, v20 dst_sel:DWORD dst_unused:UNUSED_PAD src0_sel:DWORD src1_sel:WORD_1
	v_mul_f16_sdwa v75, v40, v21 dst_sel:DWORD dst_unused:UNUSED_PAD src0_sel:DWORD src1_sel:WORD_1
	;; [unrolled: 1-line block ×9, first 2 shown]
	v_fma_f16 v55, v55, v12, v63
	v_fma_f16 v56, v56, v13, v67
	v_fma_f16 v45, v45, v14, -v68
	v_fma_f16 v57, v57, v14, v69
	v_fma_f16 v58, v58, v15, v71
	;; [unrolled: 1-line block ×4, first 2 shown]
	v_fma_f16 v41, v41, v22, -v76
	v_fma_f16 v61, v61, v22, v77
	s_waitcnt vmcnt(1)
	v_mul_f16_sdwa v67, v30, v1 dst_sel:DWORD dst_unused:UNUSED_PAD src0_sel:DWORD src1_sel:WORD_1
	s_waitcnt vmcnt(0)
	v_mul_f16_sdwa v76, v50, v18 dst_sel:DWORD dst_unused:UNUSED_PAD src0_sel:DWORD src1_sel:WORD_1
	v_fma_f16 v44, v44, v13, -v64
	v_fma_f16 v42, v42, v15, -v70
	;; [unrolled: 1-line block ×3, first 2 shown]
	v_sub_f16_e32 v58, v54, v58
	v_sub_f16_e32 v60, v56, v60
	;; [unrolled: 1-line block ×3, first 2 shown]
	v_mul_f16_sdwa v63, v35, v0 dst_sel:DWORD dst_unused:UNUSED_PAD src0_sel:DWORD src1_sel:WORD_1
	v_mul_f16_sdwa v64, v48, v1 dst_sel:DWORD dst_unused:UNUSED_PAD src0_sel:DWORD src1_sel:WORD_1
	;; [unrolled: 1-line block ×5, first 2 shown]
	v_fma_f16 v48, v48, v1, v67
	v_fma_f16 v67, v39, v18, -v76
	v_sub_f16_e32 v39, v45, v41
	v_sub_f16_e32 v41, v57, v61
	v_fma_f16 v37, v37, v12, -v62
	v_fma_f16 v43, v43, v20, -v72
	v_sub_f16_e32 v42, v36, v42
	v_sub_f16_e32 v40, v44, v40
	v_mul_f16_sdwa v62, v49, v0 dst_sel:DWORD dst_unused:UNUSED_PAD src0_sel:DWORD src1_sel:WORD_1
	v_fma_f16 v54, v54, 2.0, -v58
	v_fma_f16 v56, v56, 2.0, -v60
	v_fma_f16 v49, v49, v0, v63
	v_fma_f16 v30, v30, v1, -v64
	v_fma_f16 v63, v38, v17, -v74
	v_fma_f16 v64, v52, v17, v75
	v_fma_f16 v38, v55, 2.0, -v59
	v_fma_f16 v52, v57, 2.0, -v41
	v_sub_f16_e32 v43, v37, v43
	v_sub_f16_e32 v57, v54, v56
	;; [unrolled: 1-line block ×3, first 2 shown]
	v_add_f16_e32 v61, v58, v40
	v_sub_f16_e32 v56, v38, v52
	v_mul_f16_sdwa v73, v33, v16 dst_sel:DWORD dst_unused:UNUSED_PAD src0_sel:DWORD src1_sel:WORD_1
	v_fma_f16 v36, v36, 2.0, -v42
	v_fma_f16 v44, v44, 2.0, -v40
	;; [unrolled: 1-line block ×8, first 2 shown]
	v_add_f16_e32 v58, v59, v39
	v_mul_f16_sdwa v72, v53, v16 dst_sel:DWORD dst_unused:UNUSED_PAD src0_sel:DWORD src1_sel:WORD_1
	v_fma_f16 v35, v35, v0, -v62
	v_fma_f16 v62, v53, v16, v73
	v_sub_f16_e32 v44, v36, v44
	v_sub_f16_e32 v45, v37, v45
	;; [unrolled: 1-line block ×3, first 2 shown]
	v_fma_f16 v39, v59, 2.0, -v58
	v_sub_f16_e32 v53, v54, v52
	v_fma_f16 v36, v36, 2.0, -v44
	v_fma_f16 v37, v37, 2.0, -v45
	;; [unrolled: 1-line block ×4, first 2 shown]
	v_fma_f16 v54, v39, s0, v42
	v_sub_f16_e32 v38, v36, v37
	v_fma_f16 v37, v43, s0, v40
	v_fma_f16 v55, v43, s1, v54
	;; [unrolled: 1-line block ×3, first 2 shown]
	v_fma_f16 v54, v42, 2.0, -v55
	v_sub_f16_e32 v42, v44, v56
	v_mul_f16_sdwa v68, v46, v2 dst_sel:DWORD dst_unused:UNUSED_PAD src0_sel:DWORD src1_sel:WORD_1
	v_fma_f16 v37, v40, 2.0, -v39
	v_fma_f16 v40, v44, 2.0, -v42
	v_fma_f16 v44, v58, s1, v61
	v_mul_f16_sdwa v69, v31, v2 dst_sel:DWORD dst_unused:UNUSED_PAD src0_sel:DWORD src1_sel:WORD_1
	v_mul_f16_sdwa v70, v25, v3 dst_sel:DWORD dst_unused:UNUSED_PAD src0_sel:DWORD src1_sel:WORD_1
	;; [unrolled: 1-line block ×3, first 2 shown]
	v_fma_f16 v31, v31, v2, -v68
	v_fma_f16 v33, v33, v16, -v72
	v_fma_f16 v43, v41, s1, v60
	v_fma_f16 v59, v41, s1, v44
	v_fma_f16 v32, v32, v3, -v70
	v_fma_f16 v25, v25, v3, v71
	v_fma_f16 v43, v58, s0, v43
	v_fma_f16 v58, v61, 2.0, -v59
	v_sub_f16_e32 v33, v35, v33
	v_sub_f16_e32 v61, v31, v67
	v_fma_f16 v46, v46, v2, v69
	v_fma_f16 v50, v50, v18, v77
	v_add_f16_e32 v56, v57, v45
	v_sub_f16_e32 v32, v34, v32
	v_sub_f16_e32 v25, v47, v25
	;; [unrolled: 1-line block ×3, first 2 shown]
	v_fma_f16 v35, v35, 2.0, -v33
	v_fma_f16 v31, v31, 2.0, -v61
	;; [unrolled: 1-line block ×4, first 2 shown]
	v_sub_f16_e32 v47, v48, v64
	v_fma_f16 v30, v30, 2.0, -v45
	v_sub_f16_e32 v50, v46, v50
	v_sub_f16_e32 v67, v35, v31
	v_fma_f16 v41, v60, 2.0, -v43
	v_fma_f16 v48, v48, 2.0, -v47
	v_sub_f16_e32 v60, v49, v62
	v_sub_f16_e32 v30, v34, v30
	;; [unrolled: 1-line block ×3, first 2 shown]
	v_fma_f16 v31, v35, 2.0, -v67
	v_sub_f16_e32 v35, v33, v50
	v_fma_f16 v49, v49, 2.0, -v60
	v_fma_f16 v46, v46, 2.0, -v50
	v_sub_f16_e32 v63, v44, v48
	v_fma_f16 v48, v34, 2.0, -v30
	v_add_f16_e32 v64, v25, v45
	v_fma_f16 v32, v32, 2.0, -v47
	v_add_f16_e32 v50, v60, v61
	v_fma_f16 v33, v33, 2.0, -v35
	v_fma_f16 v25, v25, 2.0, -v64
	v_sub_f16_e32 v46, v49, v46
	v_fma_f16 v45, v60, 2.0, -v50
	v_sub_f16_e32 v61, v48, v31
	v_fma_f16 v31, v33, s0, v32
	v_fma_f16 v62, v44, 2.0, -v63
	v_fma_f16 v34, v49, 2.0, -v46
	;; [unrolled: 1-line block ×3, first 2 shown]
	v_fma_f16 v48, v45, s0, v25
	v_fma_f16 v31, v45, s0, v31
	v_sub_f16_e32 v34, v62, v34
	v_fma_f16 v49, v33, s1, v48
	v_fma_f16 v45, v32, 2.0, -v31
	v_sub_f16_e32 v32, v30, v46
	v_fma_f16 v36, v36, 2.0, -v38
	v_fma_f16 v60, v62, 2.0, -v34
	;; [unrolled: 1-line block ×4, first 2 shown]
	v_fma_f16 v25, v35, s1, v47
	v_fma_f16 v30, v50, s1, v64
	v_fma_f16 v57, v57, 2.0, -v56
	v_fma_f16 v33, v50, s0, v25
	v_fma_f16 v50, v35, s1, v30
	v_pack_b32_f16 v25, v36, v52
	v_pack_b32_f16 v30, v37, v54
	ds_write2_b32 v24, v25, v30 offset1:143
	v_pack_b32_f16 v25, v40, v57
	v_pack_b32_f16 v30, v41, v58
	v_add_f16_e32 v48, v63, v67
	ds_write2_b32 v66, v25, v30 offset0:30 offset1:173
	v_pack_b32_f16 v25, v38, v53
	v_pack_b32_f16 v30, v39, v55
	v_fma_f16 v63, v63, 2.0, -v48
	v_fma_f16 v47, v47, 2.0, -v33
	;; [unrolled: 1-line block ×3, first 2 shown]
	ds_write2_b32 v65, v25, v30 offset0:60 offset1:203
	v_pack_b32_f16 v25, v42, v56
	v_pack_b32_f16 v30, v43, v59
	ds_write2_b32 v51, v25, v30 offset0:90 offset1:233
	s_and_saveexec_b64 s[0:1], s[2:3]
	s_cbranch_execz .LBB0_11
; %bb.10:
	s_mov_b32 s6, 0x5040100
	v_perm_b32 v25, v60, v44, s6
	v_perm_b32 v30, v62, v45, s6
	ds_write2_b32 v24, v25, v30 offset0:104 offset1:247
	v_perm_b32 v25, v63, v46, s6
	v_perm_b32 v30, v64, v47, s6
	v_add_u32_e32 v35, 0x600, v24
	ds_write2_b32 v35, v25, v30 offset0:6 offset1:149
	v_perm_b32 v25, v34, v61, s6
	v_perm_b32 v30, v49, v31, s6
	v_add_u32_e32 v35, 0xa00, v24
	;; [unrolled: 4-line block ×3, first 2 shown]
	ds_write2_b32 v35, v25, v30 offset0:66 offset1:209
.LBB0_11:
	s_or_b64 exec, exec, s[0:1]
	s_waitcnt lgkmcnt(0)
	s_barrier
	s_and_saveexec_b64 s[0:1], s[4:5]
	s_cbranch_execz .LBB0_13
; %bb.12:
	v_mov_b32_e32 v25, 0
	v_lshl_add_u64 v[66:67], s[12:13], 0, v[24:25]
	v_add_co_u32_e32 v68, vcc, 0x1000, v66
	s_mov_b64 s[6:7], 0x11e0
	s_nop 0
	v_addc_co_u32_e32 v69, vcc, 0, v67, vcc
	global_load_dword v25, v[68:69], off offset:480
	v_lshl_add_u64 v[68:69], v[66:67], 0, s[6:7]
	global_load_dword v30, v[68:69], off offset:352
	global_load_dword v35, v[68:69], off offset:704
	;; [unrolled: 1-line block ×10, first 2 shown]
	v_add_co_u32_e32 v66, vcc, 0x2000, v66
	ds_read_b32 v70, v24
	s_nop 0
	v_addc_co_u32_e32 v67, vcc, 0, v67, vcc
	global_load_dword v86, v[66:67], off offset:608
	global_load_dword v87, v[68:69], off offset:3872
	v_add_u32_e32 v81, 0x400, v24
	s_waitcnt lgkmcnt(0)
	v_lshrrev_b32_e32 v71, 16, v70
	v_add_u32_e32 v82, 0x600, v24
	v_add_u32_e32 v83, 0x800, v24
	;; [unrolled: 1-line block ×3, first 2 shown]
	s_waitcnt vmcnt(12)
	v_mul_f16_sdwa v66, v71, v25 dst_sel:DWORD dst_unused:UNUSED_PAD src0_sel:DWORD src1_sel:WORD_1
	v_mul_f16_sdwa v67, v70, v25 dst_sel:DWORD dst_unused:UNUSED_PAD src0_sel:DWORD src1_sel:WORD_1
	v_fma_f16 v66, v70, v25, -v66
	v_fma_f16 v25, v71, v25, v67
	v_pack_b32_f16 v25, v66, v25
	ds_write_b32 v24, v25
	ds_read2_b32 v[66:67], v24 offset0:88 offset1:176
	ds_read2_b32 v[68:69], v81 offset0:8 offset1:96
	;; [unrolled: 1-line block ×5, first 2 shown]
	s_waitcnt lgkmcnt(4)
	v_lshrrev_b32_e32 v25, 16, v66
	s_waitcnt vmcnt(11)
	v_mul_f16_sdwa v88, v66, v30 dst_sel:DWORD dst_unused:UNUSED_PAD src0_sel:DWORD src1_sel:WORD_1
	v_lshrrev_b32_e32 v89, 16, v67
	s_waitcnt vmcnt(10)
	v_mul_f16_sdwa v90, v67, v35 dst_sel:DWORD dst_unused:UNUSED_PAD src0_sel:DWORD src1_sel:WORD_1
	s_waitcnt lgkmcnt(3)
	v_lshrrev_b32_e32 v91, 16, v68
	s_waitcnt vmcnt(9)
	v_mul_f16_sdwa v92, v68, v51 dst_sel:DWORD dst_unused:UNUSED_PAD src0_sel:DWORD src1_sel:WORD_1
	v_lshrrev_b32_e32 v93, 16, v69
	s_waitcnt vmcnt(8)
	v_mul_f16_sdwa v94, v69, v65 dst_sel:DWORD dst_unused:UNUSED_PAD src0_sel:DWORD src1_sel:WORD_1
	;; [unrolled: 7-line block ×3, first 2 shown]
	s_waitcnt lgkmcnt(1)
	v_lshrrev_b32_e32 v99, 16, v72
	s_waitcnt vmcnt(5)
	v_mul_f16_sdwa v100, v72, v78 dst_sel:DWORD dst_unused:UNUSED_PAD src0_sel:DWORD src1_sel:WORD_1
	v_lshrrev_b32_e32 v101, 16, v73
	v_mul_f16_sdwa v104, v25, v30 dst_sel:DWORD dst_unused:UNUSED_PAD src0_sel:DWORD src1_sel:WORD_1
	v_fma_f16 v25, v25, v30, v88
	v_mul_f16_sdwa v88, v89, v35 dst_sel:DWORD dst_unused:UNUSED_PAD src0_sel:DWORD src1_sel:WORD_1
	v_fma_f16 v89, v89, v35, v90
	;; [unrolled: 2-line block ×3, first 2 shown]
	v_mul_f16_sdwa v92, v93, v65 dst_sel:DWORD dst_unused:UNUSED_PAD src0_sel:DWORD src1_sel:WORD_1
	s_waitcnt vmcnt(4)
	v_mul_f16_sdwa v102, v73, v79 dst_sel:DWORD dst_unused:UNUSED_PAD src0_sel:DWORD src1_sel:WORD_1
	v_fma_f16 v93, v93, v65, v94
	v_mul_f16_sdwa v94, v95, v76 dst_sel:DWORD dst_unused:UNUSED_PAD src0_sel:DWORD src1_sel:WORD_1
	v_fma_f16 v95, v95, v76, v96
	;; [unrolled: 2-line block ×4, first 2 shown]
	v_mul_f16_sdwa v100, v101, v79 dst_sel:DWORD dst_unused:UNUSED_PAD src0_sel:DWORD src1_sel:WORD_1
	v_fma_f16 v30, v66, v30, -v104
	v_fma_f16 v35, v67, v35, -v88
	;; [unrolled: 1-line block ×4, first 2 shown]
	s_waitcnt lgkmcnt(0)
	v_lshrrev_b32_e32 v103, 16, v74
	v_fma_f16 v101, v101, v79, v102
	v_fma_f16 v66, v70, v76, -v94
	v_fma_f16 v67, v71, v77, -v96
	;; [unrolled: 1-line block ×4, first 2 shown]
	v_pack_b32_f16 v25, v30, v25
	v_pack_b32_f16 v30, v35, v89
	;; [unrolled: 1-line block ×8, first 2 shown]
	ds_write2_b32 v24, v25, v30 offset0:88 offset1:176
	ds_write2_b32 v81, v35, v51 offset0:8 offset1:96
	;; [unrolled: 1-line block ×4, first 2 shown]
	s_waitcnt vmcnt(3)
	v_mul_f16_sdwa v25, v103, v80 dst_sel:DWORD dst_unused:UNUSED_PAD src0_sel:DWORD src1_sel:WORD_1
	v_mul_f16_sdwa v30, v74, v80 dst_sel:DWORD dst_unused:UNUSED_PAD src0_sel:DWORD src1_sel:WORD_1
	v_add_u32_e32 v51, 0xe00, v24
	v_fma_f16 v25, v74, v80, -v25
	v_fma_f16 v30, v103, v80, v30
	ds_read2_b32 v[66:67], v51 offset0:72 offset1:160
	v_pack_b32_f16 v25, v25, v30
	v_lshrrev_b32_e32 v30, 16, v75
	s_waitcnt vmcnt(2)
	v_mul_f16_sdwa v35, v30, v84 dst_sel:DWORD dst_unused:UNUSED_PAD src0_sel:DWORD src1_sel:WORD_1
	v_mul_f16_sdwa v65, v75, v84 dst_sel:DWORD dst_unused:UNUSED_PAD src0_sel:DWORD src1_sel:WORD_1
	v_fma_f16 v35, v75, v84, -v35
	v_fma_f16 v30, v30, v84, v65
	v_pack_b32_f16 v30, v35, v30
	ds_write2_b32 v85, v25, v30 offset0:24 offset1:112
	s_waitcnt lgkmcnt(1)
	v_lshrrev_b32_e32 v25, 16, v66
	s_waitcnt vmcnt(0)
	v_mul_f16_sdwa v30, v25, v87 dst_sel:DWORD dst_unused:UNUSED_PAD src0_sel:DWORD src1_sel:WORD_1
	v_mul_f16_sdwa v35, v66, v87 dst_sel:DWORD dst_unused:UNUSED_PAD src0_sel:DWORD src1_sel:WORD_1
	v_fma_f16 v30, v66, v87, -v30
	v_fma_f16 v25, v25, v87, v35
	v_pack_b32_f16 v25, v30, v25
	v_lshrrev_b32_e32 v30, 16, v67
	v_mul_f16_sdwa v35, v30, v86 dst_sel:DWORD dst_unused:UNUSED_PAD src0_sel:DWORD src1_sel:WORD_1
	v_mul_f16_sdwa v65, v67, v86 dst_sel:DWORD dst_unused:UNUSED_PAD src0_sel:DWORD src1_sel:WORD_1
	v_fma_f16 v35, v67, v86, -v35
	v_fma_f16 v30, v30, v86, v65
	v_pack_b32_f16 v30, v35, v30
	ds_write2_b32 v51, v25, v30 offset0:72 offset1:160
.LBB0_13:
	s_or_b64 exec, exec, s[0:1]
	s_waitcnt lgkmcnt(0)
	s_barrier
	s_and_saveexec_b64 s[0:1], s[4:5]
	s_cbranch_execz .LBB0_15
; %bb.14:
	v_add_u32_e32 v25, 0x200, v24
	ds_read2_b32 v[40:41], v25 offset0:48 offset1:136
	v_add_u32_e32 v25, 0x800, v24
	ds_read2_b32 v[42:43], v25 offset0:16 offset1:104
	v_add_u32_e32 v25, 0xa00, v24
	v_add_u32_e32 v30, 0x400, v24
	ds_read2_b32 v[44:45], v25 offset0:64 offset1:152
	v_add_u32_e32 v25, 0xc00, v24
	ds_read2_b32 v[36:37], v24 offset1:88
	ds_read2_b32 v[38:39], v30 offset0:96 offset1:184
	ds_read2_b32 v[46:47], v25 offset0:112 offset1:200
	ds_read_b32 v61, v24 offset:4224
	s_waitcnt lgkmcnt(6)
	v_lshrrev_b32_e32 v57, 16, v40
	s_waitcnt lgkmcnt(3)
	v_lshrrev_b32_e32 v52, 16, v36
	v_lshrrev_b32_e32 v54, 16, v37
	;; [unrolled: 1-line block ×3, first 2 shown]
	s_waitcnt lgkmcnt(2)
	v_lshrrev_b32_e32 v53, 16, v38
	v_lshrrev_b32_e32 v55, 16, v39
	;; [unrolled: 1-line block ×6, first 2 shown]
	s_waitcnt lgkmcnt(1)
	v_lshrrev_b32_e32 v63, 16, v46
	v_lshrrev_b32_e32 v64, 16, v47
	s_waitcnt lgkmcnt(0)
	v_lshrrev_b32_e32 v34, 16, v61
.LBB0_15:
	s_or_b64 exec, exec, s[0:1]
	v_sub_f16_e32 v101, v54, v34
	v_add_f16_e32 v71, v61, v37
	v_add_f16_e32 v76, v34, v54
	s_movk_i32 s6, 0x3b15
	v_mul_f16_e32 v65, 0xb770, v101
	v_sub_f16_e32 v103, v57, v64
	v_sub_f16_e32 v102, v37, v61
	s_mov_b32 s0, 0xb770
	v_mul_f16_e32 v66, 0x3b15, v76
	v_fma_f16 v25, v71, s6, -v65
	s_movk_i32 s7, 0x388b
	v_add_f16_e32 v77, v47, v40
	v_add_f16_e32 v82, v64, v57
	v_mul_f16_e32 v67, 0xba95, v103
	v_add_f16_e32 v25, v36, v25
	v_fma_f16 v30, v102, s0, v66
	s_mov_b32 s0, 0xba95
	v_mul_f16_e32 v69, 0xba95, v101
	v_sub_f16_e32 v105, v40, v47
	v_mul_f16_e32 v68, 0x388b, v82
	v_fma_f16 v70, v77, s7, -v67
	v_add_f16_e32 v30, v52, v30
	v_mul_f16_e32 v72, 0x388b, v76
	v_fma_f16 v35, v71, s7, -v69
	v_add_f16_e32 v25, v70, v25
	v_fma_f16 v70, v105, s0, v68
	s_mov_b32 s16, 0xb5ac
	v_mul_f16_e32 v74, 0xbb7b, v103
	v_add_f16_e32 v35, v36, v35
	v_fma_f16 v51, v102, s0, v72
	v_add_f16_e32 v30, v70, v30
	s_mov_b32 s0, 0xbb7b
	v_mul_f16_e32 v78, 0xb5ac, v82
	v_fma_f16 v70, v77, s16, -v74
	v_add_f16_e32 v51, v52, v51
	v_add_f16_e32 v35, v70, v35
	v_fma_f16 v70, v105, s0, v78
	v_sub_f16_e32 v104, v58, v63
	v_add_f16_e32 v51, v70, v51
	v_add_f16_e32 v83, v46, v41
	v_add_f16_e32 v88, v63, v58
	s_movk_i32 s17, 0x2fb7
	v_mul_f16_e32 v70, 0xbbf1, v104
	v_sub_f16_e32 v106, v41, v46
	s_mov_b32 s1, 0xbbf1
	v_mul_f16_e32 v73, 0x2fb7, v88
	v_fma_f16 v75, v83, s17, -v70
	v_add_f16_e32 v25, v75, v25
	v_fma_f16 v75, v106, s1, v73
	s_mov_b32 s18, 0xbbc4
	v_mul_f16_e32 v80, 0xb3a8, v104
	v_add_f16_e32 v30, v75, v30
	s_mov_b32 s1, 0xb3a8
	v_mul_f16_e32 v84, 0xbbc4, v88
	v_fma_f16 v75, v83, s18, -v80
	v_add_f16_e32 v35, v75, v35
	v_fma_f16 v75, v106, s1, v84
	v_sub_f16_e32 v107, v53, v62
	v_add_f16_e32 v51, v75, v51
	v_add_f16_e32 v89, v45, v38
	;; [unrolled: 1-line block ×3, first 2 shown]
	v_mul_f16_e32 v75, 0xbb7b, v107
	v_sub_f16_e32 v109, v38, v45
	v_mul_f16_e32 v79, 0xb5ac, v93
	v_fma_f16 v81, v89, s16, -v75
	v_add_f16_e32 v25, v81, v25
	v_fma_f16 v81, v109, s0, v79
	s_mov_b32 s19, 0xb9fd
	v_mul_f16_e32 v86, 0x394e, v107
	v_add_f16_e32 v30, v81, v30
	s_movk_i32 s0, 0x394e
	v_mul_f16_e32 v90, 0xb9fd, v93
	v_fma_f16 v81, v89, s19, -v86
	v_add_f16_e32 v35, v81, v35
	v_fma_f16 v81, v109, s0, v90
	v_sub_f16_e32 v108, v55, v60
	v_add_f16_e32 v51, v81, v51
	v_add_f16_e32 v94, v44, v39
	;; [unrolled: 1-line block ×3, first 2 shown]
	v_mul_f16_e32 v81, 0xb94e, v108
	v_sub_f16_e32 v111, v39, v44
	s_mov_b32 s0, 0xb94e
	v_mul_f16_e32 v85, 0xb9fd, v97
	v_fma_f16 v87, v94, s19, -v81
	v_add_f16_e32 v25, v87, v25
	v_fma_f16 v87, v111, s0, v85
	v_mul_f16_e32 v92, 0x3bf1, v108
	v_add_f16_e32 v96, v87, v30
	s_movk_i32 s0, 0x3bf1
	v_mul_f16_e32 v95, 0x2fb7, v97
	v_fma_f16 v30, v94, s17, -v92
	v_sub_f16_e32 v110, v56, v59
	v_add_f16_e32 v35, v30, v35
	v_fma_f16 v30, v111, s0, v95
	v_add_f16_e32 v98, v43, v42
	v_add_f16_e32 v100, v59, v56
	v_mul_f16_e32 v87, 0xb3a8, v110
	v_add_f16_e32 v51, v30, v51
	v_sub_f16_e32 v112, v42, v43
	v_mul_f16_e32 v91, 0xbbc4, v100
	v_fma_f16 v30, v98, s18, -v87
	v_add_f16_e32 v30, v30, v25
	v_fma_f16 v25, v112, s1, v91
	v_add_f16_e32 v25, v25, v96
	v_mul_f16_e32 v96, 0x3770, v110
	s_movk_i32 s0, 0x3770
	v_mul_f16_e32 v99, 0x3b15, v100
	v_fma_f16 v113, v98, s6, -v96
	v_add_f16_e32 v35, v113, v35
	v_fma_f16 v113, v112, s0, v99
	v_add_f16_e32 v51, v113, v51
	s_barrier
	s_and_saveexec_b64 s[0:1], s[4:5]
	s_cbranch_execz .LBB0_17
; %bb.16:
	v_mul_f16_e32 v137, 0xbbf1, v102
	v_fma_f16 v138, v76, s17, v137
	v_mul_f16_e32 v139, 0xb3a8, v105
	v_add_f16_e32 v138, v52, v138
	v_fma_f16 v140, v82, s18, v139
	v_add_f16_e32 v138, v140, v138
	v_mul_f16_e32 v140, 0x3b7b, v106
	v_fma_f16 v141, v88, s16, v140
	v_add_f16_e32 v138, v141, v138
	v_mul_f16_e32 v141, 0x3770, v109
	;; [unrolled: 3-line block ×5, first 2 shown]
	v_fma_f16 v145, v71, s17, -v144
	v_mul_f16_e32 v146, 0xb3a8, v103
	v_add_f16_e32 v145, v36, v145
	v_fma_f16 v147, v77, s18, -v146
	v_add_f16_e32 v145, v147, v145
	v_mul_f16_e32 v147, 0x3b7b, v104
	v_fma_f16 v148, v83, s16, -v147
	v_add_f16_e32 v145, v148, v145
	v_mul_f16_e32 v148, 0x3770, v107
	v_fma_f16 v149, v89, s6, -v148
	v_add_f16_e32 v145, v149, v145
	v_mul_f16_e32 v149, 0xba95, v108
	v_fma_f16 v150, v94, s7, -v149
	v_add_f16_e32 v145, v150, v145
	v_mul_f16_e32 v150, 0xb94e, v110
	v_fma_f16 v151, v98, s19, -v150
	v_add_f16_e32 v145, v151, v145
	v_mul_f16_e32 v151, 0xbb7b, v102
	v_fma_f16 v152, v76, s16, v151
	v_mul_f16_e32 v153, 0x394e, v105
	v_add_f16_e32 v152, v52, v152
	v_fma_f16 v154, v82, s19, v153
	v_add_f16_e32 v152, v154, v152
	v_mul_f16_e32 v154, 0x3770, v106
	v_fma_f16 v155, v88, s6, v154
	v_add_f16_e32 v152, v155, v152
	v_mul_f16_e32 v155, 0xbbf1, v109
	;; [unrolled: 3-line block ×5, first 2 shown]
	v_fma_f16 v159, v71, s16, -v158
	v_mul_f16_e32 v160, 0x394e, v103
	v_add_f16_e32 v159, v36, v159
	v_fma_f16 v161, v77, s19, -v160
	v_add_f16_e32 v159, v161, v159
	v_mul_f16_e32 v161, 0x3770, v104
	v_fma_f16 v162, v83, s6, -v161
	v_add_f16_e32 v159, v162, v159
	v_mul_f16_e32 v162, 0xbbf1, v107
	;; [unrolled: 3-line block ×5, first 2 shown]
	v_fma_f16 v166, v76, s19, v165
	v_mul_f16_e32 v167, 0x3bf1, v105
	v_add_f16_e32 v166, v52, v166
	v_fma_f16 v168, v82, s17, v167
	v_add_f16_e32 v166, v168, v166
	v_mul_f16_e32 v168, 0xba95, v106
	v_fma_f16 v169, v88, s7, v168
	v_add_f16_e32 v166, v169, v166
	v_mul_f16_e32 v169, 0x33a8, v109
	;; [unrolled: 3-line block ×5, first 2 shown]
	v_fma_f16 v173, v71, s19, -v172
	v_mul_f16_e32 v174, 0x3bf1, v103
	v_add_f16_e32 v173, v36, v173
	v_fma_f16 v175, v77, s17, -v174
	v_add_f16_e32 v173, v175, v173
	v_mul_f16_e32 v175, 0xba95, v104
	v_fma_f16 v176, v83, s7, -v175
	v_add_f16_e32 v173, v176, v173
	v_mul_f16_e32 v176, 0x33a8, v107
	;; [unrolled: 3-line block ×4, first 2 shown]
	v_mul_f16_e32 v114, 0xb770, v102
	v_mul_f16_e32 v116, 0xba95, v102
	v_fma_f16 v179, v98, s16, -v178
	v_mul_f16_e32 v102, 0xb3a8, v102
	v_mul_f16_e32 v118, 0xba95, v105
	v_mul_f16_e32 v120, 0xbb7b, v105
	v_add_f16_e32 v173, v179, v173
	v_fma_f16 v179, v76, s18, v102
	v_mul_f16_e32 v105, 0x3770, v105
	v_mul_f16_e32 v122, 0xbbf1, v106
	v_mul_f16_e32 v124, 0xb3a8, v106
	v_add_f16_e32 v179, v52, v179
	v_fma_f16 v180, v82, s6, v105
	;; [unrolled: 5-line block ×5, first 2 shown]
	v_mul_f16_e32 v112, 0x3bf1, v112
	v_add_f16_e32 v179, v180, v179
	v_fma_f16 v180, v100, s17, v112
	v_mul_f16_e32 v101, 0xb3a8, v101
	v_add_f16_e32 v179, v180, v179
	v_fma_f16 v180, v71, s18, -v101
	v_mul_f16_e32 v103, 0x3770, v103
	v_fma_f16 v101, v71, s18, v101
	v_fma_f16 v181, v77, s6, -v103
	v_mul_f16_e32 v104, 0xb94e, v104
	v_add_f16_e32 v101, v36, v101
	v_fma_f16 v103, v77, s6, v103
	v_mul_f16_e32 v107, 0x3a95, v107
	v_add_f16_e32 v101, v103, v101
	v_fma_f16 v103, v83, s19, v104
	;; [unrolled: 3-line block ×4, first 2 shown]
	v_add_f16_e32 v101, v103, v101
	v_fma_f16 v103, v98, s17, v110
	v_add_f16_e32 v180, v36, v180
	v_add_f16_e32 v101, v103, v101
	v_fma_f16 v103, v76, s19, -v165
	v_add_f16_e32 v180, v181, v180
	v_fma_f16 v181, v83, s19, -v104
	v_fma_f16 v102, v76, s18, -v102
	v_add_f16_e32 v103, v52, v103
	v_fma_f16 v104, v82, s17, -v167
	v_add_f16_e32 v102, v52, v102
	v_fma_f16 v105, v82, s6, -v105
	v_add_f16_e32 v103, v104, v103
	v_fma_f16 v104, v88, s7, -v168
	v_add_f16_e32 v102, v105, v102
	v_fma_f16 v105, v88, s19, -v106
	v_add_f16_e32 v103, v104, v103
	v_fma_f16 v104, v93, s18, -v169
	v_add_f16_e32 v102, v105, v102
	v_fma_f16 v105, v93, s7, -v109
	v_add_f16_e32 v103, v104, v103
	v_fma_f16 v104, v97, s6, -v170
	v_add_f16_e32 v102, v105, v102
	v_fma_f16 v105, v97, s16, -v111
	v_add_f16_e32 v103, v104, v103
	v_fma_f16 v104, v100, s16, -v171
	v_add_f16_e32 v102, v105, v102
	v_fma_f16 v105, v100, s17, -v112
	v_add_f16_e32 v103, v104, v103
	v_fma_f16 v104, v71, s19, v172
	v_add_f16_e32 v102, v105, v102
	v_add_f16_e32 v104, v36, v104
	v_fma_f16 v105, v77, s17, v174
	v_add_f16_e32 v104, v105, v104
	v_fma_f16 v105, v83, s7, v175
	;; [unrolled: 2-line block ×5, first 2 shown]
	v_add_f16_e32 v104, v105, v104
	v_fma_f16 v105, v76, s16, -v151
	v_add_f16_e32 v105, v52, v105
	v_fma_f16 v106, v82, s19, -v153
	;; [unrolled: 2-line block ×5, first 2 shown]
	v_mul_f16_e32 v113, 0x3b15, v71
	v_mul_f16_e32 v115, 0x388b, v71
	v_add_f16_e32 v105, v106, v105
	v_fma_f16 v106, v100, s7, -v157
	v_add_f16_e32 v105, v106, v105
	v_fma_f16 v106, v71, s16, v158
	v_fma_f16 v71, v71, s17, v144
	v_add_f16_e32 v69, v115, v69
	v_add_f16_e32 v65, v113, v65
	;; [unrolled: 1-line block ×10, first 2 shown]
	v_mul_f16_e32 v117, 0x388b, v77
	v_mul_f16_e32 v119, 0xb5ac, v77
	v_add_f16_e32 v180, v181, v180
	v_fma_f16 v181, v89, s7, -v107
	v_fma_f16 v107, v77, s19, v160
	v_fma_f16 v77, v77, s18, v146
	v_add_f16_e32 v36, v41, v36
	v_add_f16_e32 v37, v58, v37
	v_add_f16_e32 v71, v77, v71
	v_fma_f16 v77, v83, s16, v147
	v_add_f16_e32 v36, v38, v36
	v_add_f16_e32 v37, v53, v37
	v_add_f16_e32 v71, v77, v71
	v_fma_f16 v77, v89, s6, v148
	v_add_f16_e32 v36, v39, v36
	v_add_f16_e32 v37, v55, v37
	v_add_f16_e32 v71, v77, v71
	v_fma_f16 v77, v94, s7, v149
	v_sub_f16_e32 v66, v66, v114
	v_add_f16_e32 v36, v42, v36
	v_add_f16_e32 v37, v56, v37
	v_mul_f16_e32 v121, 0x2fb7, v83
	v_fma_f16 v76, v76, s17, -v137
	v_add_f16_e32 v71, v77, v71
	v_fma_f16 v77, v98, s19, v150
	v_sub_f16_e32 v72, v72, v116
	v_add_f16_e32 v66, v52, v66
	v_sub_f16_e32 v68, v68, v118
	v_add_f16_e32 v67, v117, v67
	v_add_f16_e32 v36, v43, v36
	;; [unrolled: 1-line block ×3, first 2 shown]
	v_mul_f16_e32 v123, 0xbbc4, v83
	v_mul_f16_e32 v125, 0xb5ac, v89
	v_add_f16_e32 v76, v52, v76
	v_fma_f16 v82, v82, s18, -v139
	v_add_f16_e32 v71, v77, v71
	v_add_f16_e32 v72, v52, v72
	v_sub_f16_e32 v77, v78, v120
	v_add_f16_e32 v74, v119, v74
	v_add_f16_e32 v66, v68, v66
	v_sub_f16_e32 v68, v73, v122
	v_add_f16_e32 v65, v67, v65
	v_add_f16_e32 v67, v121, v70
	;; [unrolled: 1-line block ×4, first 2 shown]
	v_mul_f16_e32 v127, 0xb9fd, v89
	v_mul_f16_e32 v129, 0xb9fd, v94
	v_add_f16_e32 v76, v82, v76
	v_fma_f16 v82, v88, s16, -v140
	v_add_f16_e32 v72, v77, v72
	v_sub_f16_e32 v77, v84, v124
	v_add_f16_e32 v69, v74, v69
	v_add_f16_e32 v74, v123, v80
	;; [unrolled: 1-line block ×3, first 2 shown]
	v_sub_f16_e32 v68, v79, v126
	v_add_f16_e32 v65, v67, v65
	v_add_f16_e32 v67, v125, v75
	;; [unrolled: 1-line block ×4, first 2 shown]
	v_mul_f16_e32 v131, 0x2fb7, v94
	v_mul_f16_e32 v133, 0xbbc4, v98
	v_add_f16_e32 v106, v107, v106
	v_fma_f16 v107, v83, s6, v161
	v_add_f16_e32 v76, v82, v76
	v_fma_f16 v82, v93, s6, -v141
	v_add_f16_e32 v72, v77, v72
	v_sub_f16_e32 v77, v90, v128
	v_add_f16_e32 v69, v74, v69
	v_add_f16_e32 v74, v127, v86
	;; [unrolled: 1-line block ×3, first 2 shown]
	v_sub_f16_e32 v68, v85, v130
	v_add_f16_e32 v65, v67, v65
	v_add_f16_e32 v67, v129, v81
	;; [unrolled: 1-line block ×4, first 2 shown]
	v_mul_f16_e32 v135, 0x3b15, v98
	v_add_f16_e32 v106, v107, v106
	v_fma_f16 v107, v89, s17, v162
	v_add_f16_e32 v76, v82, v76
	v_fma_f16 v82, v97, s7, -v142
	v_add_f16_e32 v72, v77, v72
	v_sub_f16_e32 v77, v95, v132
	v_add_f16_e32 v69, v74, v69
	v_add_f16_e32 v74, v131, v92
	v_add_f16_e32 v66, v68, v66
	v_sub_f16_e32 v68, v91, v134
	v_add_f16_e32 v65, v67, v65
	v_add_f16_e32 v67, v133, v87
	;; [unrolled: 1-line block ×5, first 2 shown]
	v_fma_f16 v107, v94, s18, v163
	v_add_f16_e32 v76, v82, v76
	v_fma_f16 v82, v100, s19, -v143
	v_add_f16_e32 v72, v77, v72
	v_sub_f16_e32 v77, v99, v136
	v_add_f16_e32 v69, v74, v69
	v_add_f16_e32 v74, v135, v96
	;; [unrolled: 1-line block ×7, first 2 shown]
	v_fma_f16 v181, v94, s16, -v108
	v_add_f16_e32 v106, v107, v106
	v_fma_f16 v107, v98, s7, v164
	v_add_f16_e32 v76, v82, v76
	v_add_f16_e32 v72, v77, v72
	;; [unrolled: 1-line block ×3, first 2 shown]
	v_lshlrev_b32_e32 v23, 2, v23
	v_pack_b32_f16 v37, v65, v66
	v_pack_b32_f16 v34, v36, v34
	v_add_f16_e32 v180, v181, v180
	v_fma_f16 v181, v98, s17, -v110
	v_add_f16_e32 v106, v107, v106
	ds_write2_b32 v23, v34, v37 offset1:1
	v_pack_b32_f16 v34, v69, v72
	v_pack_b32_f16 v36, v71, v76
	v_add_f16_e32 v180, v181, v180
	ds_write2_b32 v23, v34, v36 offset0:2 offset1:3
	v_pack_b32_f16 v34, v104, v103
	v_pack_b32_f16 v36, v106, v105
	ds_write2_b32 v23, v36, v34 offset0:4 offset1:5
	v_pack_b32_f16 v34, v180, v179
	v_pack_b32_f16 v36, v101, v102
	;; [unrolled: 3-line block ×3, first 2 shown]
	s_mov_b32 s6, 0x5040100
	ds_write2_b32 v23, v36, v34 offset0:8 offset1:9
	v_pack_b32_f16 v34, v145, v138
	v_perm_b32 v36, v51, v35, s6
	ds_write2_b32 v23, v34, v36 offset0:10 offset1:11
	v_perm_b32 v34, v25, v30, s6
	ds_write_b32 v23, v34 offset:48
.LBB0_17:
	s_or_b64 exec, exec, s[0:1]
	s_waitcnt lgkmcnt(0)
	s_barrier
	ds_read2_b32 v[38:39], v24 offset1:104
	v_add_u32_e32 v23, 0x200, v24
	ds_read2_b32 v[40:41], v23 offset0:80 offset1:184
	v_add_u32_e32 v37, 0x600, v24
	ds_read2_b32 v[42:43], v37 offset0:32 offset1:136
	s_waitcnt lgkmcnt(2)
	v_lshrrev_b32_e32 v34, 16, v39
	v_add_u32_e32 v23, 0x800, v24
	ds_read2_b32 v[44:45], v23 offset0:112 offset1:216
	v_mul_f16_sdwa v62, v4, v34 dst_sel:DWORD dst_unused:UNUSED_PAD src0_sel:WORD_1 src1_sel:DWORD
	s_waitcnt lgkmcnt(2)
	v_lshrrev_b32_e32 v52, 16, v40
	v_add_u32_e32 v36, 0xc00, v24
	v_fma_f16 v62, v4, v39, v62
	v_mul_f16_sdwa v39, v4, v39 dst_sel:DWORD dst_unused:UNUSED_PAD src0_sel:WORD_1 src1_sel:DWORD
	v_lshrrev_b32_e32 v53, 16, v41
	ds_read2_b32 v[46:47], v36 offset0:64 offset1:168
	v_fma_f16 v4, v4, v34, -v39
	v_mul_f16_sdwa v34, v5, v52 dst_sel:DWORD dst_unused:UNUSED_PAD src0_sel:WORD_1 src1_sel:DWORD
	v_mul_f16_sdwa v39, v5, v40 dst_sel:DWORD dst_unused:UNUSED_PAD src0_sel:WORD_1 src1_sel:DWORD
	s_waitcnt lgkmcnt(2)
	v_lshrrev_b32_e32 v54, 16, v42
	v_fma_f16 v34, v5, v40, v34
	v_fma_f16 v5, v5, v52, -v39
	v_mul_f16_sdwa v39, v6, v53 dst_sel:DWORD dst_unused:UNUSED_PAD src0_sel:WORD_1 src1_sel:DWORD
	v_mul_f16_sdwa v40, v6, v41 dst_sel:DWORD dst_unused:UNUSED_PAD src0_sel:WORD_1 src1_sel:DWORD
	v_lshrrev_b32_e32 v55, 16, v43
	ds_read_b32 v56, v24 offset:4160
	v_fma_f16 v39, v6, v41, v39
	v_fma_f16 v6, v6, v53, -v40
	v_mul_f16_sdwa v40, v7, v54 dst_sel:DWORD dst_unused:UNUSED_PAD src0_sel:WORD_1 src1_sel:DWORD
	v_mul_f16_sdwa v41, v7, v42 dst_sel:DWORD dst_unused:UNUSED_PAD src0_sel:WORD_1 src1_sel:DWORD
	s_waitcnt lgkmcnt(2)
	v_lshrrev_b32_e32 v57, 16, v44
	v_fma_f16 v40, v7, v42, v40
	v_fma_f16 v7, v7, v54, -v41
	v_mul_f16_sdwa v41, v8, v55 dst_sel:DWORD dst_unused:UNUSED_PAD src0_sel:WORD_1 src1_sel:DWORD
	v_mul_f16_sdwa v42, v8, v43 dst_sel:DWORD dst_unused:UNUSED_PAD src0_sel:WORD_1 src1_sel:DWORD
	v_lshrrev_b32_e32 v58, 16, v45
	v_fma_f16 v41, v8, v43, v41
	v_fma_f16 v8, v8, v55, -v42
	v_mul_f16_sdwa v42, v9, v57 dst_sel:DWORD dst_unused:UNUSED_PAD src0_sel:WORD_1 src1_sel:DWORD
	v_mul_f16_sdwa v43, v9, v44 dst_sel:DWORD dst_unused:UNUSED_PAD src0_sel:WORD_1 src1_sel:DWORD
	s_waitcnt lgkmcnt(1)
	v_lshrrev_b32_e32 v59, 16, v46
	v_fma_f16 v42, v9, v44, v42
	v_fma_f16 v9, v9, v57, -v43
	v_mul_f16_sdwa v43, v10, v58 dst_sel:DWORD dst_unused:UNUSED_PAD src0_sel:WORD_1 src1_sel:DWORD
	v_mul_f16_sdwa v44, v10, v45 dst_sel:DWORD dst_unused:UNUSED_PAD src0_sel:WORD_1 src1_sel:DWORD
	v_lshrrev_b32_e32 v60, 16, v47
	v_fma_f16 v43, v10, v45, v43
	v_fma_f16 v10, v10, v58, -v44
	v_mul_f16_sdwa v44, v11, v59 dst_sel:DWORD dst_unused:UNUSED_PAD src0_sel:WORD_1 src1_sel:DWORD
	v_mul_f16_sdwa v45, v11, v46 dst_sel:DWORD dst_unused:UNUSED_PAD src0_sel:WORD_1 src1_sel:DWORD
	s_waitcnt lgkmcnt(0)
	v_lshrrev_b32_e32 v61, 16, v56
	v_fma_f16 v44, v11, v46, v44
	v_fma_f16 v11, v11, v59, -v45
	v_mul_f16_sdwa v45, v28, v60 dst_sel:DWORD dst_unused:UNUSED_PAD src0_sel:WORD_1 src1_sel:DWORD
	v_mul_f16_sdwa v46, v28, v47 dst_sel:DWORD dst_unused:UNUSED_PAD src0_sel:WORD_1 src1_sel:DWORD
	v_fma_f16 v45, v28, v47, v45
	v_fma_f16 v28, v28, v60, -v46
	v_mul_f16_sdwa v46, v29, v61 dst_sel:DWORD dst_unused:UNUSED_PAD src0_sel:WORD_1 src1_sel:DWORD
	v_mul_f16_sdwa v47, v29, v56 dst_sel:DWORD dst_unused:UNUSED_PAD src0_sel:WORD_1 src1_sel:DWORD
	v_fma_f16 v46, v29, v56, v46
	v_fma_f16 v29, v29, v61, -v47
	v_add_f16_e32 v47, v38, v62
	v_add_f16_sdwa v52, v38, v4 dst_sel:DWORD dst_unused:UNUSED_PAD src0_sel:WORD_1 src1_sel:DWORD
	v_add_f16_e32 v47, v47, v34
	v_add_f16_e32 v52, v52, v5
	v_add_f16_e32 v47, v47, v39
	v_add_f16_e32 v52, v52, v6
	v_add_f16_e32 v47, v47, v40
	v_add_f16_e32 v52, v52, v7
	v_add_f16_e32 v47, v47, v41
	v_add_f16_e32 v52, v52, v8
	v_add_f16_e32 v47, v47, v42
	v_add_f16_e32 v52, v52, v9
	v_add_f16_e32 v47, v47, v43
	v_add_f16_e32 v52, v52, v10
	v_add_f16_e32 v47, v47, v44
	v_add_f16_e32 v52, v52, v11
	v_add_f16_e32 v47, v47, v45
	v_add_f16_e32 v52, v52, v28
	v_add_f16_e32 v54, v4, v29
	v_sub_f16_e32 v4, v4, v29
	v_add_f16_e32 v47, v47, v46
	v_add_f16_e32 v52, v52, v29
	;; [unrolled: 1-line block ×3, first 2 shown]
	v_sub_f16_e32 v46, v62, v46
	s_mov_b32 s17, 0xb853
	v_mul_f16_e32 v29, 0xb853, v4
	s_movk_i32 s18, 0x3abb
	v_mul_f16_e32 v56, 0x3abb, v54
	s_movk_i32 s19, 0x3853
	s_mov_b32 s1, 0xbb47
	v_mul_f16_e32 v58, 0xbb47, v4
	s_movk_i32 s6, 0x36a6
	v_mul_f16_e32 v60, 0x36a6, v54
	s_movk_i32 s7, 0x3b47
	s_mov_b32 s0, 0xbbeb
	v_mul_f16_e32 v62, 0xbbeb, v4
	s_mov_b32 s16, 0xb08e
	v_mul_f16_e32 v64, 0xb08e, v54
	s_movk_i32 s20, 0x3beb
	s_mov_b32 s21, 0xba0c
	v_mul_f16_e32 v66, 0xba0c, v4
	s_mov_b32 s22, 0xb93d
	;; [unrolled: 5-line block ×3, first 2 shown]
	v_mul_f16_e32 v54, 0xbbad, v54
	s_movk_i32 s26, 0x3482
	v_fma_f16 v55, v53, s18, v29
	v_fma_f16 v57, v46, s19, v56
	v_fma_f16 v29, v53, s18, -v29
	v_fma_f16 v56, v46, s17, v56
	v_fma_f16 v59, v53, s6, v58
	v_fma_f16 v61, v46, s7, v60
	v_fma_f16 v58, v53, s6, -v58
	v_fma_f16 v60, v46, s1, v60
	;; [unrolled: 4-line block ×5, first 2 shown]
	v_add_f16_e32 v53, v5, v28
	v_sub_f16_e32 v5, v5, v28
	v_add_f16_e32 v55, v38, v55
	v_add_f16_sdwa v57, v38, v57 dst_sel:DWORD dst_unused:UNUSED_PAD src0_sel:WORD_1 src1_sel:DWORD
	v_add_f16_e32 v29, v38, v29
	v_add_f16_sdwa v56, v38, v56 dst_sel:DWORD dst_unused:UNUSED_PAD src0_sel:WORD_1 src1_sel:DWORD
	;; [unrolled: 2-line block ×10, first 2 shown]
	v_add_f16_e32 v46, v34, v45
	v_mul_f16_e32 v28, 0xbb47, v5
	v_sub_f16_e32 v34, v34, v45
	v_fma_f16 v45, v46, s6, v28
	v_mul_f16_e32 v54, 0x36a6, v53
	v_fma_f16 v28, v46, s6, -v28
	v_add_f16_e32 v45, v45, v55
	v_fma_f16 v55, v34, s7, v54
	v_add_f16_e32 v28, v28, v29
	v_fma_f16 v29, v34, s1, v54
	v_mul_f16_e32 v54, 0xba0c, v5
	v_add_f16_e32 v55, v55, v57
	v_add_f16_e32 v29, v29, v56
	v_fma_f16 v56, v46, s22, v54
	v_mul_f16_e32 v57, 0xb93d, v53
	v_fma_f16 v54, v46, s22, -v54
	v_add_f16_e32 v56, v56, v59
	v_fma_f16 v59, v34, s23, v57
	v_add_f16_e32 v54, v54, v58
	v_fma_f16 v57, v34, s21, v57
	v_mul_f16_e32 v58, 0x3482, v5
	v_add_f16_e32 v59, v59, v61
	v_add_f16_e32 v57, v57, v60
	v_fma_f16 v60, v46, s25, v58
	v_mul_f16_e32 v61, 0xbbad, v53
	v_fma_f16 v58, v46, s25, -v58
	v_add_f16_e32 v60, v60, v63
	v_fma_f16 v63, v34, s24, v61
	v_add_f16_e32 v58, v58, v62
	v_fma_f16 v61, v34, s26, v61
	v_mul_f16_e32 v62, 0x3beb, v5
	v_add_f16_e32 v61, v61, v64
	v_fma_f16 v64, v46, s16, v62
	v_fma_f16 v62, v46, s16, -v62
	v_mul_f16_e32 v5, 0x3853, v5
	v_add_f16_e32 v63, v63, v65
	v_mul_f16_e32 v65, 0xb08e, v53
	v_add_f16_e32 v62, v62, v66
	v_fma_f16 v66, v46, s18, v5
	v_mul_f16_e32 v53, 0x3abb, v53
	v_fma_f16 v5, v46, s18, -v5
	v_add_f16_e32 v4, v5, v4
	v_fma_f16 v5, v34, s19, v53
	v_add_f16_e32 v64, v64, v67
	v_fma_f16 v67, v34, s0, v65
	v_fma_f16 v65, v34, s20, v65
	v_add_f16_e32 v5, v5, v38
	v_add_f16_e32 v38, v6, v11
	v_sub_f16_e32 v6, v6, v11
	v_add_f16_e32 v65, v65, v68
	v_fma_f16 v68, v34, s17, v53
	v_add_f16_e32 v34, v39, v44
	v_mul_f16_e32 v11, 0xbbeb, v6
	v_sub_f16_e32 v39, v39, v44
	v_fma_f16 v44, v34, s16, v11
	v_add_f16_e32 v44, v44, v45
	v_mul_f16_e32 v45, 0xb08e, v38
	v_fma_f16 v11, v34, s16, -v11
	v_add_f16_e32 v11, v11, v28
	v_fma_f16 v28, v39, s0, v45
	v_add_f16_e32 v28, v28, v29
	v_mul_f16_e32 v29, 0x3482, v6
	v_fma_f16 v46, v39, s20, v45
	v_fma_f16 v45, v34, s25, v29
	v_fma_f16 v29, v34, s25, -v29
	v_mul_f16_e32 v53, 0xbbad, v38
	v_add_f16_e32 v29, v29, v54
	v_mul_f16_e32 v54, 0x3b47, v6
	v_add_f16_e32 v46, v46, v55
	v_add_f16_e32 v45, v45, v56
	v_fma_f16 v55, v39, s24, v53
	v_fma_f16 v53, v39, s26, v53
	;; [unrolled: 1-line block ×3, first 2 shown]
	v_fma_f16 v54, v34, s6, -v54
	v_add_f16_e32 v53, v53, v57
	v_mul_f16_e32 v57, 0x36a6, v38
	v_add_f16_e32 v54, v54, v58
	v_mul_f16_e32 v58, 0xb853, v6
	v_add_f16_e32 v55, v55, v59
	v_add_f16_e32 v56, v56, v60
	v_fma_f16 v59, v39, s1, v57
	v_fma_f16 v57, v39, s7, v57
	;; [unrolled: 1-line block ×3, first 2 shown]
	v_fma_f16 v58, v34, s18, -v58
	v_mul_f16_e32 v6, 0xba0c, v6
	v_add_f16_e32 v57, v57, v61
	v_mul_f16_e32 v61, 0x3abb, v38
	v_add_f16_e32 v58, v58, v62
	v_fma_f16 v62, v34, s22, v6
	v_mul_f16_e32 v38, 0xb93d, v38
	v_fma_f16 v6, v34, s22, -v6
	v_add_f16_e32 v4, v6, v4
	v_fma_f16 v6, v39, s21, v38
	v_add_f16_e32 v34, v7, v10
	v_sub_f16_e32 v7, v7, v10
	v_add_f16_e32 v5, v6, v5
	v_add_f16_e32 v6, v40, v43
	v_mul_f16_e32 v10, 0xba0c, v7
	v_add_f16_e32 v59, v59, v63
	v_add_f16_e32 v60, v60, v64
	v_fma_f16 v63, v39, s19, v61
	v_fma_f16 v61, v39, s17, v61
	;; [unrolled: 1-line block ×3, first 2 shown]
	v_sub_f16_e32 v38, v40, v43
	v_fma_f16 v39, v6, s22, v10
	v_mul_f16_e32 v40, 0xb93d, v34
	v_fma_f16 v10, v6, s22, -v10
	v_add_f16_e32 v10, v10, v11
	v_fma_f16 v11, v38, s21, v40
	v_add_f16_e32 v11, v11, v28
	v_mul_f16_e32 v28, 0x3beb, v7
	v_add_f16_e32 v39, v39, v44
	v_fma_f16 v43, v38, s23, v40
	v_fma_f16 v40, v6, s16, v28
	v_mul_f16_e32 v44, 0xb08e, v34
	v_fma_f16 v28, v6, s16, -v28
	v_add_f16_e32 v40, v40, v45
	v_fma_f16 v45, v38, s0, v44
	v_add_f16_e32 v28, v28, v29
	v_fma_f16 v29, v38, s20, v44
	v_mul_f16_e32 v44, 0xb853, v7
	v_add_f16_e32 v43, v43, v46
	v_fma_f16 v46, v6, s18, v44
	v_fma_f16 v44, v6, s18, -v44
	v_add_f16_e32 v29, v29, v53
	v_mul_f16_e32 v53, 0x3abb, v34
	v_add_f16_e32 v44, v44, v54
	v_mul_f16_e32 v54, 0xb482, v7
	v_add_f16_e32 v66, v66, v70
	v_add_f16_e32 v45, v45, v55
	;; [unrolled: 1-line block ×3, first 2 shown]
	v_fma_f16 v55, v38, s19, v53
	v_fma_f16 v53, v38, s17, v53
	;; [unrolled: 1-line block ×3, first 2 shown]
	v_fma_f16 v54, v6, s25, -v54
	v_mul_f16_e32 v7, 0x3b47, v7
	v_add_f16_e32 v62, v62, v66
	v_add_f16_e32 v53, v53, v57
	v_mul_f16_e32 v57, 0xbbad, v34
	v_add_f16_e32 v54, v54, v58
	v_fma_f16 v58, v6, s6, v7
	v_mul_f16_e32 v34, 0x36a6, v34
	v_fma_f16 v6, v6, s6, -v7
	v_add_f16_e32 v61, v61, v65
	v_add_f16_e32 v55, v55, v59
	v_fma_f16 v59, v38, s26, v57
	v_fma_f16 v57, v38, s24, v57
	v_add_f16_e32 v58, v58, v62
	v_add_f16_e32 v6, v6, v4
	v_fma_f16 v4, v38, s7, v34
	v_add_f16_e32 v62, v8, v9
	v_sub_f16_e32 v8, v8, v9
	v_add_f16_e32 v57, v57, v61
	v_add_f16_e32 v7, v4, v5
	;; [unrolled: 1-line block ×3, first 2 shown]
	v_mul_f16_e32 v4, 0xb482, v8
	v_fma_f16 v5, v61, s25, v4
	v_sub_f16_e32 v41, v41, v42
	v_add_f16_e32 v9, v5, v39
	v_mul_f16_e32 v5, 0xbbad, v62
	v_add_f16_e32 v56, v56, v60
	v_fma_f16 v60, v38, s1, v34
	v_fma_f16 v34, v41, s26, v5
	v_fma_f16 v4, v61, s25, -v4
	v_add_f16_e32 v42, v34, v43
	v_add_f16_e32 v34, v4, v10
	v_fma_f16 v4, v41, s24, v5
	v_add_f16_e32 v39, v4, v11
	v_mul_f16_e32 v4, 0x3853, v8
	v_fma_f16 v5, v61, s18, v4
	v_mul_f16_e32 v11, 0x3abb, v62
	v_add_f16_e32 v10, v5, v40
	v_fma_f16 v5, v41, s17, v11
	v_fma_f16 v4, v61, s18, -v4
	v_add_f16_e32 v43, v5, v45
	v_add_f16_e32 v5, v4, v28
	v_fma_f16 v4, v41, s19, v11
	v_mul_f16_e32 v28, 0xb93d, v62
	v_add_f16_e32 v40, v4, v29
	v_mul_f16_e32 v4, 0xba0c, v8
	v_fma_f16 v29, v41, s23, v28
	v_fma_f16 v28, v41, s21, v28
	;; [unrolled: 1-line block ×3, first 2 shown]
	v_fma_f16 v4, v61, s22, -v4
	v_add_f16_e32 v38, v28, v53
	v_mul_f16_e32 v28, 0x3b47, v8
	v_add_f16_e32 v4, v4, v44
	v_fma_f16 v44, v61, s6, v28
	v_fma_f16 v28, v61, s6, -v28
	v_mul_f16_e32 v8, 0xbbeb, v8
	v_mul_f16_e32 v45, 0x36a6, v62
	v_add_f16_e32 v28, v28, v54
	v_fma_f16 v53, v61, s16, v8
	v_mul_f16_e32 v54, 0xb08e, v62
	v_fma_f16 v8, v61, s16, -v8
	v_add_f16_e32 v67, v67, v69
	v_add_f16_e32 v68, v68, v71
	;; [unrolled: 1-line block ×3, first 2 shown]
	v_fma_f16 v46, v41, s1, v45
	v_fma_f16 v45, v41, s7, v45
	v_add_f16_e32 v6, v8, v6
	v_fma_f16 v8, v41, s0, v54
	v_add_f16_e32 v63, v63, v67
	v_add_f16_e32 v64, v64, v68
	;; [unrolled: 1-line block ×7, first 2 shown]
	v_fma_f16 v55, v41, s20, v54
	v_pack_b32_f16 v8, v47, v52
	v_pack_b32_f16 v9, v9, v42
	;; [unrolled: 1-line block ×4, first 2 shown]
	v_add_f16_e32 v44, v44, v56
	v_add_f16_e32 v46, v46, v59
	;; [unrolled: 1-line block ×4, first 2 shown]
	s_barrier
	ds_write2_b32 v27, v8, v9 offset1:13
	v_pack_b32_f16 v8, v10, v43
	v_pack_b32_f16 v9, v11, v29
	ds_write2_b32 v27, v6, v7 offset0:78 offset1:91
	v_pack_b32_f16 v6, v4, v38
	v_pack_b32_f16 v7, v5, v40
	ds_write2_b32 v27, v8, v9 offset0:26 offset1:39
	;; [unrolled: 3-line block ×3, first 2 shown]
	v_pack_b32_f16 v6, v34, v39
	ds_write2_b32 v27, v8, v9 offset0:52 offset1:65
	ds_write_b32 v27, v6 offset:520
	v_add_u32_e32 v27, 0x400, v24
	s_waitcnt lgkmcnt(0)
	s_barrier
	ds_read2_b32 v[6:7], v24 offset1:143
	ds_read2_b32 v[28:29], v27 offset0:30 offset1:173
	ds_read2_b32 v[10:11], v23 offset0:60 offset1:203
	;; [unrolled: 1-line block ×3, first 2 shown]
	s_and_saveexec_b64 s[0:1], s[2:3]
	s_cbranch_execz .LBB0_19
; %bb.18:
	v_add_u32_e32 v25, 0xa00, v24
	ds_read2_b32 v[4:5], v24 offset0:104 offset1:247
	ds_read2_b32 v[34:35], v37 offset0:6 offset1:149
	;; [unrolled: 1-line block ×3, first 2 shown]
	v_add_u32_e32 v25, 0xe00, v24
	ds_read2_b32 v[32:33], v25 offset0:66 offset1:209
	s_waitcnt lgkmcnt(3)
	v_lshrrev_b32_e32 v38, 16, v4
	v_lshrrev_b32_e32 v40, 16, v5
	s_waitcnt lgkmcnt(2)
	v_lshrrev_b32_e32 v39, 16, v34
	v_lshrrev_b32_e32 v51, 16, v35
	;; [unrolled: 3-line block ×4, first 2 shown]
.LBB0_19:
	s_or_b64 exec, exec, s[0:1]
	s_waitcnt lgkmcnt(3)
	v_lshrrev_b32_e32 v41, 16, v7
	v_mul_f16_sdwa v52, v12, v41 dst_sel:DWORD dst_unused:UNUSED_PAD src0_sel:WORD_1 src1_sel:DWORD
	s_waitcnt lgkmcnt(2)
	v_lshrrev_b32_e32 v42, 16, v28
	v_fma_f16 v52, v12, v7, v52
	v_mul_f16_sdwa v7, v12, v7 dst_sel:DWORD dst_unused:UNUSED_PAD src0_sel:WORD_1 src1_sel:DWORD
	v_fma_f16 v7, v12, v41, -v7
	v_mul_f16_sdwa v12, v13, v42 dst_sel:DWORD dst_unused:UNUSED_PAD src0_sel:WORD_1 src1_sel:DWORD
	v_lshrrev_b32_e32 v43, 16, v29
	v_fma_f16 v12, v13, v28, v12
	v_mul_f16_sdwa v28, v13, v28 dst_sel:DWORD dst_unused:UNUSED_PAD src0_sel:WORD_1 src1_sel:DWORD
	v_fma_f16 v13, v13, v42, -v28
	v_mul_f16_sdwa v28, v14, v43 dst_sel:DWORD dst_unused:UNUSED_PAD src0_sel:WORD_1 src1_sel:DWORD
	s_waitcnt lgkmcnt(1)
	v_lshrrev_b32_e32 v44, 16, v10
	v_fma_f16 v28, v14, v29, v28
	v_mul_f16_sdwa v29, v14, v29 dst_sel:DWORD dst_unused:UNUSED_PAD src0_sel:WORD_1 src1_sel:DWORD
	v_fma_f16 v14, v14, v43, -v29
	v_mul_f16_sdwa v29, v15, v44 dst_sel:DWORD dst_unused:UNUSED_PAD src0_sel:WORD_1 src1_sel:DWORD
	v_lshrrev_b32_e32 v45, 16, v11
	v_fma_f16 v29, v15, v10, v29
	v_mul_f16_sdwa v10, v15, v10 dst_sel:DWORD dst_unused:UNUSED_PAD src0_sel:WORD_1 src1_sel:DWORD
	v_fma_f16 v10, v15, v44, -v10
	v_mul_f16_sdwa v15, v20, v45 dst_sel:DWORD dst_unused:UNUSED_PAD src0_sel:WORD_1 src1_sel:DWORD
	s_waitcnt lgkmcnt(0)
	v_lshrrev_b32_e32 v46, 16, v8
	v_fma_f16 v15, v20, v11, v15
	v_mul_f16_sdwa v11, v20, v11 dst_sel:DWORD dst_unused:UNUSED_PAD src0_sel:WORD_1 src1_sel:DWORD
	v_fma_f16 v11, v20, v45, -v11
	v_mul_f16_sdwa v20, v21, v46 dst_sel:DWORD dst_unused:UNUSED_PAD src0_sel:WORD_1 src1_sel:DWORD
	v_lshrrev_b32_e32 v47, 16, v9
	v_fma_f16 v20, v21, v8, v20
	v_mul_f16_sdwa v8, v21, v8 dst_sel:DWORD dst_unused:UNUSED_PAD src0_sel:WORD_1 src1_sel:DWORD
	v_fma_f16 v8, v21, v46, -v8
	v_mul_f16_sdwa v21, v22, v47 dst_sel:DWORD dst_unused:UNUSED_PAD src0_sel:WORD_1 src1_sel:DWORD
	v_fma_f16 v21, v22, v9, v21
	v_mul_f16_sdwa v9, v22, v9 dst_sel:DWORD dst_unused:UNUSED_PAD src0_sel:WORD_1 src1_sel:DWORD
	v_lshrrev_b32_e32 v37, 16, v6
	v_fma_f16 v9, v22, v47, -v9
	v_sub_f16_e32 v22, v6, v29
	v_sub_f16_e32 v10, v37, v10
	;; [unrolled: 1-line block ×8, first 2 shown]
	v_fma_f16 v6, v6, 2.0, -v22
	v_fma_f16 v29, v37, 2.0, -v10
	;; [unrolled: 1-line block ×8, first 2 shown]
	v_add_f16_e32 v8, v22, v8
	v_sub_f16_e32 v20, v10, v20
	v_add_f16_e32 v9, v15, v9
	v_sub_f16_e32 v21, v11, v21
	v_sub_f16_e32 v12, v6, v12
	;; [unrolled: 1-line block ×3, first 2 shown]
	v_fma_f16 v22, v22, 2.0, -v8
	v_fma_f16 v10, v10, 2.0, -v20
	v_sub_f16_e32 v28, v37, v28
	v_sub_f16_e32 v14, v7, v14
	v_fma_f16 v15, v15, 2.0, -v9
	v_fma_f16 v11, v11, 2.0, -v21
	s_mov_b32 s6, 0xb9a8
	v_fma_f16 v6, v6, 2.0, -v12
	v_fma_f16 v29, v29, 2.0, -v13
	;; [unrolled: 1-line block ×4, first 2 shown]
	v_fma_f16 v41, v15, s6, v22
	v_fma_f16 v42, v11, s6, v10
	s_movk_i32 s7, 0x39a8
	v_sub_f16_e32 v37, v6, v37
	v_sub_f16_e32 v7, v29, v7
	v_fma_f16 v11, v11, s7, v41
	v_fma_f16 v15, v15, s6, v42
	;; [unrolled: 1-line block ×4, first 2 shown]
	v_fma_f16 v6, v6, 2.0, -v37
	v_fma_f16 v29, v29, 2.0, -v7
	v_fma_f16 v22, v22, 2.0, -v11
	v_fma_f16 v10, v10, 2.0, -v15
	v_add_f16_e32 v14, v12, v14
	v_sub_f16_e32 v28, v13, v28
	v_fma_f16 v21, v21, s7, v41
	v_fma_f16 v9, v9, s6, v42
	v_fma_f16 v12, v12, 2.0, -v14
	v_fma_f16 v13, v13, 2.0, -v28
	;; [unrolled: 1-line block ×4, first 2 shown]
	v_pack_b32_f16 v6, v6, v29
	v_pack_b32_f16 v10, v22, v10
	ds_write2_b32 v24, v6, v10 offset1:143
	v_pack_b32_f16 v6, v12, v13
	v_pack_b32_f16 v8, v8, v20
	ds_write2_b32 v27, v6, v8 offset0:30 offset1:173
	v_pack_b32_f16 v6, v37, v7
	v_pack_b32_f16 v7, v11, v15
	ds_write2_b32 v23, v6, v7 offset0:60 offset1:203
	;; [unrolled: 3-line block ×3, first 2 shown]
	s_and_saveexec_b64 s[0:1], s[2:3]
	s_cbranch_execz .LBB0_21
; %bb.20:
	v_mul_f16_sdwa v12, v2, v51 dst_sel:DWORD dst_unused:UNUSED_PAD src0_sel:WORD_1 src1_sel:DWORD
	v_mul_f16_sdwa v15, v2, v35 dst_sel:DWORD dst_unused:UNUSED_PAD src0_sel:WORD_1 src1_sel:DWORD
	v_fma_f16 v12, v2, v35, v12
	v_mul_f16_sdwa v13, v18, v50 dst_sel:DWORD dst_unused:UNUSED_PAD src0_sel:WORD_1 src1_sel:DWORD
	v_fma_f16 v2, v2, v51, -v15
	v_mul_f16_sdwa v15, v18, v33 dst_sel:DWORD dst_unused:UNUSED_PAD src0_sel:WORD_1 src1_sel:DWORD
	v_mul_f16_sdwa v8, v3, v25 dst_sel:DWORD dst_unused:UNUSED_PAD src0_sel:WORD_1 src1_sel:DWORD
	;; [unrolled: 1-line block ×3, first 2 shown]
	v_fma_f16 v13, v18, v33, v13
	v_fma_f16 v15, v18, v50, -v15
	v_mul_f16_sdwa v18, v0, v40 dst_sel:DWORD dst_unused:UNUSED_PAD src0_sel:WORD_1 src1_sel:DWORD
	v_mul_f16_sdwa v21, v3, v30 dst_sel:DWORD dst_unused:UNUSED_PAD src0_sel:WORD_1 src1_sel:DWORD
	v_mul_f16_sdwa v6, v1, v34 dst_sel:DWORD dst_unused:UNUSED_PAD src0_sel:WORD_1 src1_sel:DWORD
	v_mul_f16_sdwa v7, v17, v32 dst_sel:DWORD dst_unused:UNUSED_PAD src0_sel:WORD_1 src1_sel:DWORD
	v_fma_f16 v8, v3, v30, v8
	v_fma_f16 v10, v0, v40, -v10
	v_fma_f16 v0, v0, v5, v18
	v_mul_f16_sdwa v5, v16, v49 dst_sel:DWORD dst_unused:UNUSED_PAD src0_sel:WORD_1 src1_sel:DWORD
	v_fma_f16 v3, v3, v25, -v21
	v_mul_f16_sdwa v21, v1, v39 dst_sel:DWORD dst_unused:UNUSED_PAD src0_sel:WORD_1 src1_sel:DWORD
	v_fma_f16 v6, v1, v39, -v6
	v_fma_f16 v7, v17, v48, -v7
	v_mul_f16_sdwa v11, v16, v31 dst_sel:DWORD dst_unused:UNUSED_PAD src0_sel:WORD_1 src1_sel:DWORD
	v_fma_f16 v5, v16, v31, v5
	v_fma_f16 v1, v1, v34, v21
	v_mul_f16_sdwa v21, v17, v48 dst_sel:DWORD dst_unused:UNUSED_PAD src0_sel:WORD_1 src1_sel:DWORD
	v_sub_f16_e32 v7, v6, v7
	v_sub_f16_e32 v8, v4, v8
	v_fma_f16 v11, v16, v49, -v11
	v_sub_f16_e32 v15, v2, v15
	v_sub_f16_e32 v5, v0, v5
	v_fma_f16 v17, v17, v32, v21
	v_add_f16_e32 v9, v7, v8
	v_sub_f16_e32 v11, v10, v11
	v_sub_f16_e32 v13, v12, v13
	v_add_f16_e32 v16, v15, v5
	v_sub_f16_e32 v17, v1, v17
	v_sub_f16_e32 v14, v11, v13
	v_fma_f16 v18, v16, s7, v9
	v_sub_f16_e32 v3, v38, v3
	v_fma_f16 v4, v4, 2.0, -v8
	v_fma_f16 v1, v1, 2.0, -v17
	;; [unrolled: 1-line block ×4, first 2 shown]
	v_fma_f16 v18, v14, s7, v18
	v_sub_f16_e32 v21, v3, v17
	v_sub_f16_e32 v1, v4, v1
	;; [unrolled: 1-line block ×3, first 2 shown]
	v_fma_f16 v25, v38, 2.0, -v3
	v_fma_f16 v6, v6, 2.0, -v7
	;; [unrolled: 1-line block ×7, first 2 shown]
	v_add_f16_e32 v15, v1, v2
	v_sub_f16_e32 v6, v25, v6
	v_sub_f16_e32 v7, v0, v7
	v_fma_f16 v9, v11, 2.0, -v14
	v_fma_f16 v11, v5, s6, v8
	v_fma_f16 v3, v3, 2.0, -v21
	v_fma_f16 v17, v1, 2.0, -v15
	v_fma_f16 v11, v9, s7, v11
	v_fma_f16 v9, v9, s6, v3
	v_fma_f16 v1, v4, 2.0, -v1
	v_fma_f16 v0, v0, 2.0, -v7
	;; [unrolled: 1-line block ×4, first 2 shown]
	v_fma_f16 v22, v14, s7, v21
	v_fma_f16 v5, v5, s6, v9
	v_sub_f16_e32 v0, v1, v0
	v_sub_f16_e32 v2, v4, v2
	v_fma_f16 v22, v16, s6, v22
	v_sub_f16_e32 v12, v6, v7
	v_fma_f16 v8, v8, 2.0, -v11
	v_fma_f16 v3, v3, 2.0, -v5
	;; [unrolled: 1-line block ×6, first 2 shown]
	v_pack_b32_f16 v1, v1, v4
	v_pack_b32_f16 v3, v8, v3
	ds_write2_b32 v24, v1, v3 offset0:104 offset1:247
	v_pack_b32_f16 v1, v17, v13
	v_pack_b32_f16 v3, v20, v23
	v_add_u32_e32 v4, 0x600, v24
	ds_write2_b32 v4, v1, v3 offset0:6 offset1:149
	v_pack_b32_f16 v0, v0, v2
	v_pack_b32_f16 v1, v11, v5
	v_add_u32_e32 v2, 0xa00, v24
	;; [unrolled: 4-line block ×3, first 2 shown]
	ds_write2_b32 v2, v0, v1 offset0:66 offset1:209
.LBB0_21:
	s_or_b64 exec, exec, s[0:1]
	s_waitcnt lgkmcnt(0)
	s_barrier
	s_and_b64 exec, exec, s[4:5]
	s_cbranch_execz .LBB0_23
; %bb.22:
	global_load_dword v12, v24, s[12:13]
	ds_read_b32 v13, v24
	global_load_dword v7, v24, s[12:13] offset:352
	global_load_dword v9, v24, s[12:13] offset:704
	;; [unrolled: 1-line block ×6, first 2 shown]
	v_mad_u64_u32 v[4:5], s[0:1], s10, v26, 0
	v_mov_b32_e32 v16, v5
	s_waitcnt lgkmcnt(0)
	v_lshrrev_b32_e32 v5, 16, v13
	s_mov_b32 s6, 0x55ee191
	s_mov_b32 s7, 0x3f4ca4b3
	s_movk_i32 s10, 0x1ff
	s_mov_b32 s16, 0x8000
	v_mov_b32_e32 v2, s14
	s_movk_i32 s14, 0xffe
	v_mov_b32_e32 v25, 0
	v_lshl_add_u64 v[0:1], s[12:13], 0, v[24:25]
	v_mov_b32_e32 v6, 0x7c00
	v_mov_b32_e32 v3, s15
	s_movk_i32 s15, 0x40f
	s_movk_i32 s17, 0x1000
	s_waitcnt vmcnt(6)
	v_mul_f16_sdwa v17, v13, v12 dst_sel:DWORD dst_unused:UNUSED_PAD src0_sel:DWORD src1_sel:WORD_1
	v_mul_f16_sdwa v15, v5, v12 dst_sel:DWORD dst_unused:UNUSED_PAD src0_sel:DWORD src1_sel:WORD_1
	v_fma_f16 v5, v12, v5, -v17
	v_fma_f16 v13, v13, v12, v15
	v_cvt_f32_f16_e32 v17, v5
	v_cvt_f32_f16_e32 v15, v13
	v_mad_u64_u32 v[12:13], s[0:1], s11, v26, v[16:17]
	v_mov_b32_e32 v5, v12
	v_cvt_f64_f32_e32 v[12:13], v15
	v_cvt_f64_f32_e32 v[16:17], v17
	v_mul_f64 v[12:13], v[12:13], s[6:7]
	v_mul_f64 v[16:17], v[16:17], s[6:7]
	v_and_or_b32 v12, v13, s10, v12
	v_lshrrev_b32_e32 v15, 8, v13
	v_bfe_u32 v18, v13, 20, 11
	v_and_b32_sdwa v20, v13, s16 dst_sel:DWORD dst_unused:UNUSED_PAD src0_sel:WORD_1 src1_sel:DWORD
	v_and_or_b32 v13, v17, s10, v16
	v_cmp_ne_u32_e32 vcc, 0, v12
	v_lshrrev_b32_e32 v16, 8, v17
	v_bfe_u32 v21, v17, 20, 11
	v_cndmask_b32_e64 v12, 0, 1, vcc
	v_cmp_ne_u32_e32 vcc, 0, v13
	v_sub_u32_e32 v22, 0x3f1, v18
	v_and_or_b32 v12, v15, s14, v12
	v_cndmask_b32_e64 v13, 0, 1, vcc
	v_sub_u32_e32 v23, 0x3f1, v21
	v_med3_i32 v15, v22, 0, 13
	v_and_or_b32 v13, v16, s14, v13
	v_or_b32_e32 v22, 0x1000, v12
	v_add_u32_e32 v18, 0xfffffc10, v18
	v_med3_i32 v16, v23, 0, 13
	v_cmp_ne_u32_e32 vcc, 0, v12
	v_or_b32_e32 v25, 0x1000, v13
	v_lshrrev_b32_e32 v27, v15, v22
	v_add_u32_e32 v21, 0xfffffc10, v21
	v_lshl_or_b32 v23, v18, 12, v12
	v_cndmask_b32_e64 v12, 0, 1, vcc
	v_cmp_ne_u32_e32 vcc, 0, v13
	v_lshrrev_b32_e32 v28, v16, v25
	v_lshlrev_b32_e32 v15, v15, v27
	v_lshl_or_b32 v26, v21, 12, v13
	v_cndmask_b32_e64 v13, 0, 1, vcc
	v_lshlrev_b32_e32 v16, v16, v28
	v_cmp_ne_u32_e32 vcc, v15, v22
	v_lshl_or_b32 v12, v12, 9, v6
	v_lshl_or_b32 v13, v13, 9, v6
	v_cndmask_b32_e64 v15, 0, 1, vcc
	v_cmp_ne_u32_e32 vcc, v16, v25
	v_or_b32_e32 v15, v27, v15
	v_lshl_add_u64 v[2:3], v[4:5], 2, v[2:3]
	v_cndmask_b32_e64 v16, 0, 1, vcc
	v_cmp_gt_i32_e32 vcc, 1, v18
	v_or_b32_e32 v16, v28, v16
	s_nop 0
	v_cndmask_b32_e32 v15, v23, v15, vcc
	v_cmp_gt_i32_e32 vcc, 1, v21
	v_and_b32_e32 v22, 7, v15
	v_cmp_eq_u32_e64 s[0:1], 3, v22
	v_cndmask_b32_e32 v16, v26, v16, vcc
	v_cmp_lt_i32_e32 vcc, 5, v22
	v_lshrrev_b32_e32 v15, 2, v15
	v_and_b32_e32 v23, 7, v16
	s_or_b64 vcc, s[0:1], vcc
	v_cmp_lt_i32_e64 s[2:3], 5, v23
	v_cmp_eq_u32_e64 s[4:5], 3, v23
	v_addc_co_u32_e32 v15, vcc, 0, v15, vcc
	v_lshrrev_b32_e32 v16, 2, v16
	s_or_b64 vcc, s[4:5], s[2:3]
	v_addc_co_u32_e32 v16, vcc, 0, v16, vcc
	v_cmp_gt_i32_e32 vcc, 31, v18
	s_mov_b32 s2, 0xffff
	s_mul_i32 s3, s9, 0x160
	v_cndmask_b32_e32 v15, v6, v15, vcc
	v_cmp_gt_i32_e32 vcc, 31, v21
	s_nop 1
	v_cndmask_b32_e32 v16, v6, v16, vcc
	v_cmp_eq_u32_e32 vcc, s15, v18
	s_nop 1
	v_cndmask_b32_e32 v15, v15, v12, vcc
	v_cmp_eq_u32_e32 vcc, s15, v21
	v_bitop3_b32 v15, v20, s2, v15 bitop3:0xc8
	s_nop 0
	v_cndmask_b32_e32 v12, v16, v13, vcc
	v_lshrrev_b32_e32 v13, 16, v17
	v_and_or_b32 v21, v13, s16, v12
	v_mad_u64_u32 v[12:13], s[0:1], s8, v19, 0
	v_mov_b32_e32 v16, v13
	v_mad_u64_u32 v[16:17], s[0:1], s9, v19, v[16:17]
	ds_read2_b32 v[18:19], v24 offset0:88 offset1:176
	v_mov_b32_e32 v13, v16
	v_lshl_or_b32 v15, v21, 16, v15
	v_lshl_add_u64 v[2:3], v[12:13], 2, v[2:3]
	global_store_dword v[2:3], v15, off
	s_waitcnt lgkmcnt(0)
	v_lshrrev_b32_e32 v16, 16, v18
	s_waitcnt vmcnt(6)
	v_mul_f16_sdwa v17, v16, v7 dst_sel:DWORD dst_unused:UNUSED_PAD src0_sel:DWORD src1_sel:WORD_1
	v_fma_f16 v17, v18, v7, v17
	v_cvt_f32_f16_e32 v17, v17
	v_cvt_f64_f32_e32 v[4:5], v17
	v_mul_f64 v[4:5], v[4:5], s[6:7]
	v_and_or_b32 v4, v5, s10, v4
	v_cmp_ne_u32_e32 vcc, 0, v4
	v_lshrrev_b32_e32 v12, 8, v5
	v_bfe_u32 v13, v5, 20, 11
	v_cndmask_b32_e64 v4, 0, 1, vcc
	v_and_or_b32 v4, v12, s14, v4
	v_sub_u32_e32 v15, 0x3f1, v13
	v_or_b32_e32 v12, 0x1000, v4
	v_med3_i32 v15, v15, 0, 13
	v_lshrrev_b32_e32 v17, v15, v12
	v_lshlrev_b32_e32 v15, v15, v17
	v_cmp_ne_u32_e32 vcc, v15, v12
	v_add_u32_e32 v13, 0xfffffc10, v13
	v_lshl_or_b32 v15, v13, 12, v4
	v_cndmask_b32_e64 v12, 0, 1, vcc
	v_or_b32_e32 v12, v17, v12
	v_cmp_gt_i32_e32 vcc, 1, v13
	s_nop 1
	v_cndmask_b32_e32 v12, v15, v12, vcc
	v_and_b32_e32 v15, 7, v12
	v_cmp_lt_i32_e32 vcc, 5, v15
	v_cmp_eq_u32_e64 s[0:1], 3, v15
	v_lshrrev_b32_e32 v12, 2, v12
	s_or_b64 vcc, s[0:1], vcc
	v_mul_f16_sdwa v15, v18, v7 dst_sel:DWORD dst_unused:UNUSED_PAD src0_sel:DWORD src1_sel:WORD_1
	v_addc_co_u32_e32 v12, vcc, 0, v12, vcc
	v_fma_f16 v7, v7, v16, -v15
	v_cmp_gt_i32_e32 vcc, 31, v13
	v_cvt_f32_f16_e32 v7, v7
	s_nop 0
	v_cndmask_b32_e32 v12, v6, v12, vcc
	v_cmp_ne_u32_e32 vcc, 0, v4
	s_nop 1
	v_cndmask_b32_e64 v4, 0, 1, vcc
	v_lshl_or_b32 v4, v4, 9, v6
	v_cmp_eq_u32_e32 vcc, s15, v13
	v_and_b32_sdwa v13, v5, s16 dst_sel:DWORD dst_unused:UNUSED_PAD src0_sel:WORD_1 src1_sel:DWORD
	s_nop 0
	v_cndmask_b32_e32 v12, v12, v4, vcc
	v_cvt_f64_f32_e32 v[4:5], v7
	v_mul_f64 v[4:5], v[4:5], s[6:7]
	v_and_or_b32 v4, v5, s10, v4
	v_cmp_ne_u32_e32 vcc, 0, v4
	v_lshrrev_b32_e32 v7, 8, v5
	v_bfe_u32 v15, v5, 20, 11
	v_cndmask_b32_e64 v4, 0, 1, vcc
	v_and_or_b32 v4, v7, s14, v4
	v_sub_u32_e32 v16, 0x3f1, v15
	v_or_b32_e32 v7, 0x1000, v4
	v_med3_i32 v16, v16, 0, 13
	v_lshrrev_b32_e32 v17, v16, v7
	v_lshlrev_b32_e32 v16, v16, v17
	v_cmp_ne_u32_e32 vcc, v16, v7
	v_add_u32_e32 v15, 0xfffffc10, v15
	v_lshl_or_b32 v16, v15, 12, v4
	v_cndmask_b32_e64 v7, 0, 1, vcc
	v_or_b32_e32 v7, v17, v7
	v_cmp_gt_i32_e32 vcc, 1, v15
	v_lshrrev_b32_e32 v5, 16, v5
	s_nop 0
	v_cndmask_b32_e32 v7, v16, v7, vcc
	v_and_b32_e32 v16, 7, v7
	v_cmp_lt_i32_e32 vcc, 5, v16
	v_cmp_eq_u32_e64 s[0:1], 3, v16
	v_lshrrev_b32_e32 v7, 2, v7
	s_or_b64 vcc, s[0:1], vcc
	v_addc_co_u32_e32 v7, vcc, 0, v7, vcc
	v_cmp_gt_i32_e32 vcc, 31, v15
	s_nop 1
	v_cndmask_b32_e32 v7, v6, v7, vcc
	v_cmp_ne_u32_e32 vcc, 0, v4
	s_nop 1
	v_cndmask_b32_e64 v4, 0, 1, vcc
	v_lshl_or_b32 v4, v4, 9, v6
	v_cmp_eq_u32_e32 vcc, s15, v15
	s_nop 1
	v_cndmask_b32_e32 v4, v7, v4, vcc
	v_and_or_b32 v4, v5, s16, v4
	v_bitop3_b32 v5, v13, s2, v12 bitop3:0xc8
	v_lshrrev_b32_e32 v12, 16, v19
	v_lshl_or_b32 v4, v4, 16, v5
	s_waitcnt vmcnt(5)
	v_mul_f16_sdwa v5, v12, v9 dst_sel:DWORD dst_unused:UNUSED_PAD src0_sel:DWORD src1_sel:WORD_1
	v_fma_f16 v5, v19, v9, v5
	v_cvt_f32_f16_e32 v5, v5
	v_mov_b32_e32 v7, 0x160
	v_mad_u64_u32 v[2:3], s[0:1], s8, v7, v[2:3]
	v_add_u32_e32 v3, s3, v3
	global_store_dword v[2:3], v4, off
	v_cvt_f64_f32_e32 v[4:5], v5
	v_mul_f64 v[4:5], v[4:5], s[6:7]
	v_and_or_b32 v4, v5, s10, v4
	v_cmp_ne_u32_e32 vcc, 0, v4
	v_lshrrev_b32_e32 v13, 8, v5
	v_bfe_u32 v15, v5, 20, 11
	v_cndmask_b32_e64 v4, 0, 1, vcc
	v_and_or_b32 v4, v13, s14, v4
	v_sub_u32_e32 v16, 0x3f1, v15
	v_or_b32_e32 v13, 0x1000, v4
	v_med3_i32 v16, v16, 0, 13
	v_lshrrev_b32_e32 v17, v16, v13
	v_lshlrev_b32_e32 v16, v16, v17
	v_cmp_ne_u32_e32 vcc, v16, v13
	v_add_u32_e32 v15, 0xfffffc10, v15
	v_lshl_or_b32 v16, v15, 12, v4
	v_cndmask_b32_e64 v13, 0, 1, vcc
	v_or_b32_e32 v13, v17, v13
	v_cmp_gt_i32_e32 vcc, 1, v15
	s_nop 1
	v_cndmask_b32_e32 v13, v16, v13, vcc
	v_and_b32_e32 v16, 7, v13
	v_cmp_lt_i32_e32 vcc, 5, v16
	v_cmp_eq_u32_e64 s[0:1], 3, v16
	v_lshrrev_b32_e32 v13, 2, v13
	s_or_b64 vcc, s[0:1], vcc
	v_mul_f16_sdwa v16, v19, v9 dst_sel:DWORD dst_unused:UNUSED_PAD src0_sel:DWORD src1_sel:WORD_1
	v_addc_co_u32_e32 v13, vcc, 0, v13, vcc
	v_fma_f16 v9, v9, v12, -v16
	v_cmp_gt_i32_e32 vcc, 31, v15
	v_cvt_f32_f16_e32 v9, v9
	v_and_b32_sdwa v16, v5, s16 dst_sel:DWORD dst_unused:UNUSED_PAD src0_sel:WORD_1 src1_sel:DWORD
	v_cndmask_b32_e32 v13, v6, v13, vcc
	v_cmp_ne_u32_e32 vcc, 0, v4
	s_nop 1
	v_cndmask_b32_e64 v4, 0, 1, vcc
	v_lshl_or_b32 v4, v4, 9, v6
	v_cmp_eq_u32_e32 vcc, s15, v15
	s_nop 1
	v_cndmask_b32_e32 v15, v13, v4, vcc
	v_cvt_f64_f32_e32 v[4:5], v9
	v_mul_f64 v[4:5], v[4:5], s[6:7]
	v_and_or_b32 v4, v5, s10, v4
	v_cmp_ne_u32_e32 vcc, 0, v4
	v_lshrrev_b32_e32 v9, 8, v5
	v_bfe_u32 v12, v5, 20, 11
	v_cndmask_b32_e64 v4, 0, 1, vcc
	v_and_or_b32 v4, v9, s14, v4
	v_sub_u32_e32 v13, 0x3f1, v12
	v_or_b32_e32 v9, 0x1000, v4
	v_med3_i32 v13, v13, 0, 13
	v_lshrrev_b32_e32 v17, v13, v9
	v_lshlrev_b32_e32 v13, v13, v17
	v_cmp_ne_u32_e32 vcc, v13, v9
	v_add_u32_e32 v12, 0xfffffc10, v12
	v_lshl_or_b32 v13, v12, 12, v4
	v_cndmask_b32_e64 v9, 0, 1, vcc
	v_or_b32_e32 v9, v17, v9
	v_cmp_gt_i32_e32 vcc, 1, v12
	v_lshrrev_b32_e32 v5, 16, v5
	s_nop 0
	v_cndmask_b32_e32 v9, v13, v9, vcc
	v_and_b32_e32 v13, 7, v9
	v_cmp_lt_i32_e32 vcc, 5, v13
	v_cmp_eq_u32_e64 s[0:1], 3, v13
	v_lshrrev_b32_e32 v9, 2, v9
	s_or_b64 vcc, s[0:1], vcc
	v_addc_co_u32_e32 v9, vcc, 0, v9, vcc
	v_cmp_gt_i32_e32 vcc, 31, v12
	v_mad_u64_u32 v[2:3], s[0:1], s8, v7, v[2:3]
	s_nop 0
	v_cndmask_b32_e32 v9, v6, v9, vcc
	v_cmp_ne_u32_e32 vcc, 0, v4
	v_add_u32_e32 v3, s3, v3
	s_nop 0
	v_cndmask_b32_e64 v4, 0, 1, vcc
	v_lshl_or_b32 v4, v4, 9, v6
	v_cmp_eq_u32_e32 vcc, s15, v12
	s_nop 1
	v_cndmask_b32_e32 v4, v9, v4, vcc
	v_add_u32_e32 v9, 0x400, v24
	ds_read2_b32 v[12:13], v9 offset0:8 offset1:96
	v_and_or_b32 v4, v5, s16, v4
	v_bitop3_b32 v5, v16, s2, v15 bitop3:0xc8
	v_lshl_or_b32 v4, v4, 16, v5
	global_store_dword v[2:3], v4, off
	s_waitcnt lgkmcnt(0)
	v_lshrrev_b32_e32 v9, 16, v12
	s_waitcnt vmcnt(6)
	v_mul_f16_sdwa v5, v9, v10 dst_sel:DWORD dst_unused:UNUSED_PAD src0_sel:DWORD src1_sel:WORD_1
	v_fma_f16 v5, v12, v10, v5
	v_cvt_f32_f16_e32 v5, v5
	v_mul_f16_sdwa v12, v12, v10 dst_sel:DWORD dst_unused:UNUSED_PAD src0_sel:DWORD src1_sel:WORD_1
	v_fma_f16 v9, v10, v9, -v12
	v_cvt_f32_f16_e32 v9, v9
	v_cvt_f64_f32_e32 v[4:5], v5
	v_mul_f64 v[4:5], v[4:5], s[6:7]
	v_and_or_b32 v4, v5, s10, v4
	v_cmp_ne_u32_e32 vcc, 0, v4
	v_lshrrev_b32_e32 v15, 8, v5
	v_bfe_u32 v16, v5, 20, 11
	v_cndmask_b32_e64 v4, 0, 1, vcc
	v_and_or_b32 v4, v15, s14, v4
	v_sub_u32_e32 v17, 0x3f1, v16
	v_or_b32_e32 v15, 0x1000, v4
	v_med3_i32 v17, v17, 0, 13
	v_lshrrev_b32_e32 v18, v17, v15
	v_lshlrev_b32_e32 v17, v17, v18
	v_cmp_ne_u32_e32 vcc, v17, v15
	v_add_u32_e32 v16, 0xfffffc10, v16
	v_lshl_or_b32 v17, v16, 12, v4
	v_cndmask_b32_e64 v15, 0, 1, vcc
	v_or_b32_e32 v15, v18, v15
	v_cmp_gt_i32_e32 vcc, 1, v16
	v_and_b32_sdwa v12, v5, s16 dst_sel:DWORD dst_unused:UNUSED_PAD src0_sel:WORD_1 src1_sel:DWORD
	s_nop 0
	v_cndmask_b32_e32 v15, v17, v15, vcc
	v_and_b32_e32 v17, 7, v15
	v_cmp_lt_i32_e32 vcc, 5, v17
	v_cmp_eq_u32_e64 s[0:1], 3, v17
	v_lshrrev_b32_e32 v15, 2, v15
	s_or_b64 vcc, s[0:1], vcc
	v_addc_co_u32_e32 v15, vcc, 0, v15, vcc
	v_cmp_gt_i32_e32 vcc, 31, v16
	s_nop 1
	v_cndmask_b32_e32 v15, v6, v15, vcc
	v_cmp_ne_u32_e32 vcc, 0, v4
	s_nop 1
	v_cndmask_b32_e64 v4, 0, 1, vcc
	v_lshl_or_b32 v4, v4, 9, v6
	v_cmp_eq_u32_e32 vcc, s15, v16
	s_nop 1
	v_cndmask_b32_e32 v10, v15, v4, vcc
	v_cvt_f64_f32_e32 v[4:5], v9
	v_mul_f64 v[4:5], v[4:5], s[6:7]
	v_and_or_b32 v4, v5, s10, v4
	v_cmp_ne_u32_e32 vcc, 0, v4
	v_lshrrev_b32_e32 v9, 8, v5
	v_bfe_u32 v15, v5, 20, 11
	v_cndmask_b32_e64 v4, 0, 1, vcc
	v_and_or_b32 v4, v9, s14, v4
	v_sub_u32_e32 v16, 0x3f1, v15
	v_or_b32_e32 v9, 0x1000, v4
	v_med3_i32 v16, v16, 0, 13
	v_lshrrev_b32_e32 v17, v16, v9
	v_lshlrev_b32_e32 v16, v16, v17
	v_cmp_ne_u32_e32 vcc, v16, v9
	v_add_u32_e32 v15, 0xfffffc10, v15
	v_lshl_or_b32 v16, v15, 12, v4
	v_cndmask_b32_e64 v9, 0, 1, vcc
	v_or_b32_e32 v9, v17, v9
	v_cmp_gt_i32_e32 vcc, 1, v15
	v_lshrrev_b32_e32 v5, 16, v5
	s_nop 0
	v_cndmask_b32_e32 v9, v16, v9, vcc
	v_and_b32_e32 v16, 7, v9
	v_cmp_lt_i32_e32 vcc, 5, v16
	v_cmp_eq_u32_e64 s[0:1], 3, v16
	v_lshrrev_b32_e32 v9, 2, v9
	s_or_b64 vcc, s[0:1], vcc
	v_addc_co_u32_e32 v9, vcc, 0, v9, vcc
	v_cmp_gt_i32_e32 vcc, 31, v15
	v_mad_u64_u32 v[2:3], s[0:1], s8, v7, v[2:3]
	s_nop 0
	v_cndmask_b32_e32 v9, v6, v9, vcc
	v_cmp_ne_u32_e32 vcc, 0, v4
	v_add_u32_e32 v3, s3, v3
	s_nop 0
	v_cndmask_b32_e64 v4, 0, 1, vcc
	v_lshl_or_b32 v4, v4, 9, v6
	v_cmp_eq_u32_e32 vcc, s15, v15
	s_nop 1
	v_cndmask_b32_e32 v4, v9, v4, vcc
	v_and_or_b32 v4, v5, s16, v4
	v_bitop3_b32 v5, v12, s2, v10 bitop3:0xc8
	v_lshrrev_b32_e32 v9, 16, v13
	v_lshl_or_b32 v4, v4, 16, v5
	s_waitcnt vmcnt(5)
	v_mul_f16_sdwa v5, v9, v11 dst_sel:DWORD dst_unused:UNUSED_PAD src0_sel:DWORD src1_sel:WORD_1
	v_fma_f16 v5, v13, v11, v5
	v_cvt_f32_f16_e32 v5, v5
	global_store_dword v[2:3], v4, off
	v_mul_f16_sdwa v13, v13, v11 dst_sel:DWORD dst_unused:UNUSED_PAD src0_sel:DWORD src1_sel:WORD_1
	v_fma_f16 v9, v11, v9, -v13
	v_cvt_f64_f32_e32 v[4:5], v5
	v_mul_f64 v[4:5], v[4:5], s[6:7]
	v_and_or_b32 v4, v5, s10, v4
	v_cmp_ne_u32_e32 vcc, 0, v4
	v_lshrrev_b32_e32 v10, 8, v5
	v_bfe_u32 v12, v5, 20, 11
	v_cndmask_b32_e64 v4, 0, 1, vcc
	v_and_or_b32 v4, v10, s14, v4
	v_sub_u32_e32 v15, 0x3f1, v12
	v_or_b32_e32 v10, 0x1000, v4
	v_med3_i32 v15, v15, 0, 13
	v_lshrrev_b32_e32 v16, v15, v10
	v_lshlrev_b32_e32 v15, v15, v16
	v_cmp_ne_u32_e32 vcc, v15, v10
	v_add_u32_e32 v12, 0xfffffc10, v12
	v_lshl_or_b32 v15, v12, 12, v4
	v_cndmask_b32_e64 v10, 0, 1, vcc
	v_or_b32_e32 v10, v16, v10
	v_cmp_gt_i32_e32 vcc, 1, v12
	v_cvt_f32_f16_e32 v9, v9
	v_and_b32_sdwa v13, v5, s16 dst_sel:DWORD dst_unused:UNUSED_PAD src0_sel:WORD_1 src1_sel:DWORD
	v_cndmask_b32_e32 v10, v15, v10, vcc
	v_and_b32_e32 v15, 7, v10
	v_cmp_lt_i32_e32 vcc, 5, v15
	v_cmp_eq_u32_e64 s[0:1], 3, v15
	v_lshrrev_b32_e32 v10, 2, v10
	s_or_b64 vcc, s[0:1], vcc
	v_addc_co_u32_e32 v10, vcc, 0, v10, vcc
	v_cmp_gt_i32_e32 vcc, 31, v12
	s_nop 1
	v_cndmask_b32_e32 v10, v6, v10, vcc
	v_cmp_ne_u32_e32 vcc, 0, v4
	s_nop 1
	v_cndmask_b32_e64 v4, 0, 1, vcc
	v_lshl_or_b32 v4, v4, 9, v6
	v_cmp_eq_u32_e32 vcc, s15, v12
	s_nop 1
	v_cndmask_b32_e32 v12, v10, v4, vcc
	v_cvt_f64_f32_e32 v[4:5], v9
	v_mul_f64 v[4:5], v[4:5], s[6:7]
	v_and_or_b32 v4, v5, s10, v4
	v_cmp_ne_u32_e32 vcc, 0, v4
	v_lshrrev_b32_e32 v9, 8, v5
	v_bfe_u32 v10, v5, 20, 11
	v_cndmask_b32_e64 v4, 0, 1, vcc
	v_and_or_b32 v4, v9, s14, v4
	v_sub_u32_e32 v11, 0x3f1, v10
	v_or_b32_e32 v9, 0x1000, v4
	v_med3_i32 v11, v11, 0, 13
	v_lshrrev_b32_e32 v15, v11, v9
	v_lshlrev_b32_e32 v11, v11, v15
	v_cmp_ne_u32_e32 vcc, v11, v9
	v_add_u32_e32 v10, 0xfffffc10, v10
	v_lshl_or_b32 v11, v10, 12, v4
	v_cndmask_b32_e64 v9, 0, 1, vcc
	v_or_b32_e32 v9, v15, v9
	v_cmp_gt_i32_e32 vcc, 1, v10
	v_lshrrev_b32_e32 v5, 16, v5
	s_nop 0
	v_cndmask_b32_e32 v9, v11, v9, vcc
	v_and_b32_e32 v11, 7, v9
	v_cmp_lt_i32_e32 vcc, 5, v11
	v_cmp_eq_u32_e64 s[0:1], 3, v11
	v_lshrrev_b32_e32 v9, 2, v9
	s_or_b64 vcc, s[0:1], vcc
	v_addc_co_u32_e32 v9, vcc, 0, v9, vcc
	v_cmp_gt_i32_e32 vcc, 31, v10
	v_mad_u64_u32 v[2:3], s[0:1], s8, v7, v[2:3]
	s_nop 0
	v_cndmask_b32_e32 v9, v6, v9, vcc
	v_cmp_ne_u32_e32 vcc, 0, v4
	v_add_u32_e32 v3, s3, v3
	s_nop 0
	v_cndmask_b32_e64 v4, 0, 1, vcc
	v_lshl_or_b32 v4, v4, 9, v6
	v_cmp_eq_u32_e32 vcc, s15, v10
	s_nop 1
	v_cndmask_b32_e32 v4, v9, v4, vcc
	v_add_u32_e32 v9, 0x600, v24
	ds_read2_b32 v[10:11], v9 offset0:56 offset1:144
	v_and_or_b32 v4, v5, s16, v4
	v_bitop3_b32 v5, v13, s2, v12 bitop3:0xc8
	v_lshl_or_b32 v4, v4, 16, v5
	global_store_dword v[2:3], v4, off
	s_waitcnt lgkmcnt(0)
	v_lshrrev_b32_e32 v9, 16, v10
	s_waitcnt vmcnt(6)
	v_mul_f16_sdwa v5, v9, v14 dst_sel:DWORD dst_unused:UNUSED_PAD src0_sel:DWORD src1_sel:WORD_1
	v_fma_f16 v5, v10, v14, v5
	v_cvt_f32_f16_e32 v5, v5
	v_mul_f16_sdwa v10, v10, v14 dst_sel:DWORD dst_unused:UNUSED_PAD src0_sel:DWORD src1_sel:WORD_1
	v_fma_f16 v9, v14, v9, -v10
	v_cvt_f32_f16_e32 v9, v9
	v_cvt_f64_f32_e32 v[4:5], v5
	v_mul_f64 v[4:5], v[4:5], s[6:7]
	v_and_or_b32 v4, v5, s10, v4
	v_cmp_ne_u32_e32 vcc, 0, v4
	v_lshrrev_b32_e32 v12, 8, v5
	v_bfe_u32 v13, v5, 20, 11
	v_cndmask_b32_e64 v4, 0, 1, vcc
	v_and_or_b32 v4, v12, s14, v4
	v_sub_u32_e32 v15, 0x3f1, v13
	v_or_b32_e32 v12, 0x1000, v4
	v_med3_i32 v15, v15, 0, 13
	v_lshrrev_b32_e32 v16, v15, v12
	v_lshlrev_b32_e32 v15, v15, v16
	v_cmp_ne_u32_e32 vcc, v15, v12
	v_add_u32_e32 v13, 0xfffffc10, v13
	v_lshl_or_b32 v15, v13, 12, v4
	v_cndmask_b32_e64 v12, 0, 1, vcc
	v_or_b32_e32 v12, v16, v12
	v_cmp_gt_i32_e32 vcc, 1, v13
	s_nop 1
	v_cndmask_b32_e32 v12, v15, v12, vcc
	v_and_b32_e32 v15, 7, v12
	v_cmp_lt_i32_e32 vcc, 5, v15
	v_cmp_eq_u32_e64 s[0:1], 3, v15
	v_lshrrev_b32_e32 v12, 2, v12
	s_or_b64 vcc, s[0:1], vcc
	v_addc_co_u32_e32 v12, vcc, 0, v12, vcc
	v_cmp_gt_i32_e32 vcc, 31, v13
	s_nop 1
	v_cndmask_b32_e32 v12, v6, v12, vcc
	v_cmp_ne_u32_e32 vcc, 0, v4
	s_nop 1
	v_cndmask_b32_e64 v4, 0, 1, vcc
	v_lshl_or_b32 v4, v4, 9, v6
	v_cmp_eq_u32_e32 vcc, s15, v13
	s_nop 1
	v_cndmask_b32_e32 v10, v12, v4, vcc
	v_and_b32_sdwa v12, v5, s16 dst_sel:DWORD dst_unused:UNUSED_PAD src0_sel:WORD_1 src1_sel:DWORD
	v_cvt_f64_f32_e32 v[4:5], v9
	v_mul_f64 v[4:5], v[4:5], s[6:7]
	v_and_or_b32 v4, v5, s10, v4
	v_cmp_ne_u32_e32 vcc, 0, v4
	v_lshrrev_b32_e32 v9, 8, v5
	v_bfe_u32 v13, v5, 20, 11
	v_cndmask_b32_e64 v4, 0, 1, vcc
	v_and_or_b32 v4, v9, s14, v4
	v_sub_u32_e32 v14, 0x3f1, v13
	v_or_b32_e32 v9, 0x1000, v4
	v_med3_i32 v14, v14, 0, 13
	v_lshrrev_b32_e32 v15, v14, v9
	v_lshlrev_b32_e32 v14, v14, v15
	v_cmp_ne_u32_e32 vcc, v14, v9
	v_add_u32_e32 v13, 0xfffffc10, v13
	v_lshl_or_b32 v14, v13, 12, v4
	v_cndmask_b32_e64 v9, 0, 1, vcc
	v_or_b32_e32 v9, v15, v9
	v_cmp_gt_i32_e32 vcc, 1, v13
	v_lshrrev_b32_e32 v5, 16, v5
	s_nop 0
	v_cndmask_b32_e32 v9, v14, v9, vcc
	v_and_b32_e32 v14, 7, v9
	v_cmp_lt_i32_e32 vcc, 5, v14
	v_cmp_eq_u32_e64 s[0:1], 3, v14
	v_lshrrev_b32_e32 v9, 2, v9
	s_or_b64 vcc, s[0:1], vcc
	v_addc_co_u32_e32 v9, vcc, 0, v9, vcc
	v_cmp_gt_i32_e32 vcc, 31, v13
	v_mad_u64_u32 v[2:3], s[0:1], s8, v7, v[2:3]
	s_nop 0
	v_cndmask_b32_e32 v9, v6, v9, vcc
	v_cmp_ne_u32_e32 vcc, 0, v4
	v_add_u32_e32 v3, s3, v3
	s_nop 0
	v_cndmask_b32_e64 v4, 0, 1, vcc
	v_lshl_or_b32 v4, v4, 9, v6
	v_cmp_eq_u32_e32 vcc, s15, v13
	s_nop 1
	v_cndmask_b32_e32 v4, v9, v4, vcc
	v_and_or_b32 v4, v5, s16, v4
	v_bitop3_b32 v5, v12, s2, v10 bitop3:0xc8
	global_load_dword v10, v24, s[12:13] offset:2464
	v_lshrrev_b32_e32 v9, 16, v11
	v_lshl_or_b32 v4, v4, 16, v5
	s_waitcnt vmcnt(6)
	v_mul_f16_sdwa v5, v9, v8 dst_sel:DWORD dst_unused:UNUSED_PAD src0_sel:DWORD src1_sel:WORD_1
	v_fma_f16 v5, v11, v8, v5
	v_cvt_f32_f16_e32 v5, v5
	global_store_dword v[2:3], v4, off
	v_mul_f16_sdwa v11, v11, v8 dst_sel:DWORD dst_unused:UNUSED_PAD src0_sel:DWORD src1_sel:WORD_1
	v_fma_f16 v8, v8, v9, -v11
	v_cvt_f64_f32_e32 v[4:5], v5
	v_mul_f64 v[4:5], v[4:5], s[6:7]
	v_and_or_b32 v4, v5, s10, v4
	v_cmp_ne_u32_e32 vcc, 0, v4
	v_lshrrev_b32_e32 v12, 8, v5
	v_bfe_u32 v13, v5, 20, 11
	v_cndmask_b32_e64 v4, 0, 1, vcc
	v_and_or_b32 v4, v12, s14, v4
	v_sub_u32_e32 v14, 0x3f1, v13
	v_or_b32_e32 v12, 0x1000, v4
	v_med3_i32 v14, v14, 0, 13
	v_lshrrev_b32_e32 v15, v14, v12
	v_lshlrev_b32_e32 v14, v14, v15
	v_cmp_ne_u32_e32 vcc, v14, v12
	v_add_u32_e32 v13, 0xfffffc10, v13
	v_lshl_or_b32 v14, v13, 12, v4
	v_cndmask_b32_e64 v12, 0, 1, vcc
	v_or_b32_e32 v12, v15, v12
	v_cmp_gt_i32_e32 vcc, 1, v13
	v_cvt_f32_f16_e32 v8, v8
	s_nop 0
	v_cndmask_b32_e32 v12, v14, v12, vcc
	v_and_b32_e32 v14, 7, v12
	v_cmp_lt_i32_e32 vcc, 5, v14
	v_cmp_eq_u32_e64 s[0:1], 3, v14
	v_lshrrev_b32_e32 v12, 2, v12
	s_or_b64 vcc, s[0:1], vcc
	v_addc_co_u32_e32 v12, vcc, 0, v12, vcc
	v_cmp_gt_i32_e32 vcc, 31, v13
	s_nop 1
	v_cndmask_b32_e32 v12, v6, v12, vcc
	v_cmp_ne_u32_e32 vcc, 0, v4
	s_nop 1
	v_cndmask_b32_e64 v4, 0, 1, vcc
	v_lshl_or_b32 v4, v4, 9, v6
	v_cmp_eq_u32_e32 vcc, s15, v13
	s_nop 1
	v_cndmask_b32_e32 v11, v12, v4, vcc
	v_and_b32_sdwa v12, v5, s16 dst_sel:DWORD dst_unused:UNUSED_PAD src0_sel:WORD_1 src1_sel:DWORD
	v_cvt_f64_f32_e32 v[4:5], v8
	v_mul_f64 v[8:9], v[4:5], s[6:7]
	v_and_or_b32 v4, v9, s10, v8
	v_cmp_ne_u32_e32 vcc, 0, v4
	v_lshrrev_b32_e32 v5, 8, v9
	v_bfe_u32 v8, v9, 20, 11
	v_cndmask_b32_e64 v4, 0, 1, vcc
	v_and_or_b32 v4, v5, s14, v4
	v_sub_u32_e32 v13, 0x3f1, v8
	v_or_b32_e32 v5, 0x1000, v4
	v_med3_i32 v13, v13, 0, 13
	v_lshrrev_b32_e32 v14, v13, v5
	v_lshlrev_b32_e32 v13, v13, v14
	v_cmp_ne_u32_e32 vcc, v13, v5
	v_add_u32_e32 v8, 0xfffffc10, v8
	v_lshl_or_b32 v13, v8, 12, v4
	v_cndmask_b32_e64 v5, 0, 1, vcc
	v_or_b32_e32 v5, v14, v5
	v_cmp_gt_i32_e32 vcc, 1, v8
	v_lshrrev_b32_e32 v9, 16, v9
	s_nop 0
	v_cndmask_b32_e32 v5, v13, v5, vcc
	v_and_b32_e32 v13, 7, v5
	v_cmp_lt_i32_e32 vcc, 5, v13
	v_cmp_eq_u32_e64 s[0:1], 3, v13
	v_lshrrev_b32_e32 v5, 2, v5
	s_or_b64 vcc, s[0:1], vcc
	v_addc_co_u32_e32 v5, vcc, 0, v5, vcc
	v_cmp_gt_i32_e32 vcc, 31, v8
	v_mad_u64_u32 v[2:3], s[0:1], s8, v7, v[2:3]
	s_nop 0
	v_cndmask_b32_e32 v5, v6, v5, vcc
	v_cmp_ne_u32_e32 vcc, 0, v4
	v_add_u32_e32 v3, s3, v3
	s_nop 0
	v_cndmask_b32_e64 v4, 0, 1, vcc
	v_lshl_or_b32 v4, v4, 9, v6
	v_cmp_eq_u32_e32 vcc, s15, v8
	s_nop 1
	v_cndmask_b32_e32 v8, v5, v4, vcc
	v_add_u32_e32 v4, 0x800, v24
	ds_read2_b32 v[4:5], v4 offset0:104 offset1:192
	v_and_or_b32 v8, v9, s16, v8
	v_bitop3_b32 v9, v12, s2, v11 bitop3:0xc8
	global_load_dword v12, v24, s[12:13] offset:2816
	global_load_dword v13, v24, s[12:13] offset:3168
	;; [unrolled: 1-line block ×4, first 2 shown]
	v_lshl_or_b32 v8, v8, 16, v9
	s_waitcnt lgkmcnt(0)
	v_lshrrev_b32_e32 v11, 16, v4
	s_waitcnt vmcnt(5)
	v_mul_f16_sdwa v9, v11, v10 dst_sel:DWORD dst_unused:UNUSED_PAD src0_sel:DWORD src1_sel:WORD_1
	v_fma_f16 v9, v4, v10, v9
	v_cvt_f32_f16_e32 v9, v9
	global_store_dword v[2:3], v8, off
	v_mul_f16_sdwa v4, v4, v10 dst_sel:DWORD dst_unused:UNUSED_PAD src0_sel:DWORD src1_sel:WORD_1
	v_fma_f16 v4, v10, v11, -v4
	v_cvt_f64_f32_e32 v[8:9], v9
	v_mul_f64 v[8:9], v[8:9], s[6:7]
	v_and_or_b32 v8, v9, s10, v8
	v_cmp_ne_u32_e32 vcc, 0, v8
	v_lshrrev_b32_e32 v16, 8, v9
	v_bfe_u32 v17, v9, 20, 11
	v_cndmask_b32_e64 v8, 0, 1, vcc
	v_and_or_b32 v8, v16, s14, v8
	v_sub_u32_e32 v18, 0x3f1, v17
	v_or_b32_e32 v16, 0x1000, v8
	v_med3_i32 v18, v18, 0, 13
	v_lshrrev_b32_e32 v19, v18, v16
	v_lshlrev_b32_e32 v18, v18, v19
	v_cmp_ne_u32_e32 vcc, v18, v16
	v_add_u32_e32 v17, 0xfffffc10, v17
	v_lshl_or_b32 v18, v17, 12, v8
	v_cndmask_b32_e64 v16, 0, 1, vcc
	v_or_b32_e32 v16, v19, v16
	v_cmp_gt_i32_e32 vcc, 1, v17
	v_cvt_f32_f16_e32 v4, v4
	v_and_b32_sdwa v11, v9, s16 dst_sel:DWORD dst_unused:UNUSED_PAD src0_sel:WORD_1 src1_sel:DWORD
	v_cndmask_b32_e32 v16, v18, v16, vcc
	v_and_b32_e32 v18, 7, v16
	v_cmp_lt_i32_e32 vcc, 5, v18
	v_cmp_eq_u32_e64 s[0:1], 3, v18
	v_lshrrev_b32_e32 v16, 2, v16
	s_or_b64 vcc, s[0:1], vcc
	v_addc_co_u32_e32 v16, vcc, 0, v16, vcc
	v_cmp_gt_i32_e32 vcc, 31, v17
	s_nop 1
	v_cndmask_b32_e32 v16, v6, v16, vcc
	v_cmp_ne_u32_e32 vcc, 0, v8
	s_nop 1
	v_cndmask_b32_e64 v8, 0, 1, vcc
	v_lshl_or_b32 v8, v8, 9, v6
	v_cmp_eq_u32_e32 vcc, s15, v17
	s_nop 1
	v_cndmask_b32_e32 v10, v16, v8, vcc
	v_cvt_f64_f32_e32 v[8:9], v4
	v_mul_f64 v[8:9], v[8:9], s[6:7]
	v_and_or_b32 v4, v9, s10, v8
	v_cmp_ne_u32_e32 vcc, 0, v4
	v_lshrrev_b32_e32 v8, 8, v9
	v_bfe_u32 v16, v9, 20, 11
	v_cndmask_b32_e64 v4, 0, 1, vcc
	v_and_or_b32 v4, v8, s14, v4
	v_sub_u32_e32 v17, 0x3f1, v16
	v_or_b32_e32 v8, 0x1000, v4
	v_med3_i32 v17, v17, 0, 13
	v_lshrrev_b32_e32 v18, v17, v8
	v_lshlrev_b32_e32 v17, v17, v18
	v_cmp_ne_u32_e32 vcc, v17, v8
	v_add_u32_e32 v16, 0xfffffc10, v16
	v_lshl_or_b32 v17, v16, 12, v4
	v_cndmask_b32_e64 v8, 0, 1, vcc
	v_or_b32_e32 v8, v18, v8
	v_cmp_gt_i32_e32 vcc, 1, v16
	s_nop 1
	v_cndmask_b32_e32 v8, v17, v8, vcc
	v_and_b32_e32 v17, 7, v8
	v_cmp_lt_i32_e32 vcc, 5, v17
	v_cmp_eq_u32_e64 s[0:1], 3, v17
	v_lshrrev_b32_e32 v8, 2, v8
	s_or_b64 vcc, s[0:1], vcc
	v_addc_co_u32_e32 v8, vcc, 0, v8, vcc
	v_cmp_gt_i32_e32 vcc, 31, v16
	v_mad_u64_u32 v[2:3], s[0:1], s8, v7, v[2:3]
	s_nop 0
	v_cndmask_b32_e32 v8, v6, v8, vcc
	v_cmp_ne_u32_e32 vcc, 0, v4
	v_add_u32_e32 v3, s3, v3
	s_nop 0
	v_cndmask_b32_e64 v4, 0, 1, vcc
	v_lshl_or_b32 v4, v4, 9, v6
	v_cmp_eq_u32_e32 vcc, s15, v16
	s_nop 1
	v_cndmask_b32_e32 v4, v8, v4, vcc
	v_lshrrev_b32_e32 v8, 16, v9
	v_and_or_b32 v4, v8, s16, v4
	v_bitop3_b32 v8, v11, s2, v10 bitop3:0xc8
	v_lshrrev_b32_e32 v10, 16, v5
	v_lshl_or_b32 v4, v4, 16, v8
	s_waitcnt vmcnt(4)
	v_mul_f16_sdwa v8, v10, v12 dst_sel:DWORD dst_unused:UNUSED_PAD src0_sel:DWORD src1_sel:WORD_1
	v_fma_f16 v8, v5, v12, v8
	v_cvt_f32_f16_e32 v8, v8
	global_store_dword v[2:3], v4, off
	v_mul_f16_sdwa v5, v5, v12 dst_sel:DWORD dst_unused:UNUSED_PAD src0_sel:DWORD src1_sel:WORD_1
	v_fma_f16 v5, v12, v10, -v5
	v_cvt_f64_f32_e32 v[8:9], v8
	v_mul_f64 v[8:9], v[8:9], s[6:7]
	v_and_or_b32 v4, v9, s10, v8
	v_cmp_ne_u32_e32 vcc, 0, v4
	v_lshrrev_b32_e32 v8, 8, v9
	v_bfe_u32 v11, v9, 20, 11
	v_cndmask_b32_e64 v4, 0, 1, vcc
	v_and_or_b32 v4, v8, s14, v4
	v_sub_u32_e32 v16, 0x3f1, v11
	v_or_b32_e32 v8, 0x1000, v4
	v_med3_i32 v16, v16, 0, 13
	v_lshrrev_b32_e32 v17, v16, v8
	v_lshlrev_b32_e32 v16, v16, v17
	v_cmp_ne_u32_e32 vcc, v16, v8
	v_add_u32_e32 v11, 0xfffffc10, v11
	v_lshl_or_b32 v16, v11, 12, v4
	v_cndmask_b32_e64 v8, 0, 1, vcc
	v_or_b32_e32 v8, v17, v8
	v_cmp_gt_i32_e32 vcc, 1, v11
	v_cvt_f32_f16_e32 v5, v5
	s_nop 0
	v_cndmask_b32_e32 v8, v16, v8, vcc
	v_and_b32_e32 v16, 7, v8
	v_cmp_lt_i32_e32 vcc, 5, v16
	v_cmp_eq_u32_e64 s[0:1], 3, v16
	v_lshrrev_b32_e32 v8, 2, v8
	s_or_b64 vcc, s[0:1], vcc
	v_addc_co_u32_e32 v8, vcc, 0, v8, vcc
	v_cmp_gt_i32_e32 vcc, 31, v11
	s_nop 1
	v_cndmask_b32_e32 v8, v6, v8, vcc
	v_cmp_ne_u32_e32 vcc, 0, v4
	s_nop 1
	v_cndmask_b32_e64 v4, 0, 1, vcc
	v_lshl_or_b32 v4, v4, 9, v6
	v_cmp_eq_u32_e32 vcc, s15, v11
	v_and_b32_sdwa v11, v9, s16 dst_sel:DWORD dst_unused:UNUSED_PAD src0_sel:WORD_1 src1_sel:DWORD
	s_nop 0
	v_cndmask_b32_e32 v10, v8, v4, vcc
	v_cvt_f64_f32_e32 v[4:5], v5
	v_mul_f64 v[4:5], v[4:5], s[6:7]
	v_and_or_b32 v4, v5, s10, v4
	v_cmp_ne_u32_e32 vcc, 0, v4
	v_lshrrev_b32_e32 v8, 8, v5
	v_bfe_u32 v9, v5, 20, 11
	v_cndmask_b32_e64 v4, 0, 1, vcc
	v_and_or_b32 v4, v8, s14, v4
	v_sub_u32_e32 v12, 0x3f1, v9
	v_or_b32_e32 v8, 0x1000, v4
	v_med3_i32 v12, v12, 0, 13
	v_lshrrev_b32_e32 v16, v12, v8
	v_lshlrev_b32_e32 v12, v12, v16
	v_cmp_ne_u32_e32 vcc, v12, v8
	v_add_u32_e32 v9, 0xfffffc10, v9
	v_lshl_or_b32 v12, v9, 12, v4
	v_cndmask_b32_e64 v8, 0, 1, vcc
	v_or_b32_e32 v8, v16, v8
	v_cmp_gt_i32_e32 vcc, 1, v9
	v_lshrrev_b32_e32 v5, 16, v5
	s_nop 0
	v_cndmask_b32_e32 v8, v12, v8, vcc
	v_and_b32_e32 v12, 7, v8
	v_cmp_lt_i32_e32 vcc, 5, v12
	v_cmp_eq_u32_e64 s[0:1], 3, v12
	v_lshrrev_b32_e32 v8, 2, v8
	s_or_b64 vcc, s[0:1], vcc
	v_addc_co_u32_e32 v8, vcc, 0, v8, vcc
	v_cmp_gt_i32_e32 vcc, 31, v9
	v_mad_u64_u32 v[2:3], s[0:1], s8, v7, v[2:3]
	s_nop 0
	v_cndmask_b32_e32 v8, v6, v8, vcc
	v_cmp_ne_u32_e32 vcc, 0, v4
	v_add_u32_e32 v3, s3, v3
	s_nop 0
	v_cndmask_b32_e64 v4, 0, 1, vcc
	v_lshl_or_b32 v4, v4, 9, v6
	v_cmp_eq_u32_e32 vcc, s15, v9
	s_nop 1
	v_cndmask_b32_e32 v4, v8, v4, vcc
	v_add_u32_e32 v8, 0xc00, v24
	ds_read2_b32 v[8:9], v8 offset0:24 offset1:112
	v_and_or_b32 v4, v5, s16, v4
	v_bitop3_b32 v5, v11, s2, v10 bitop3:0xc8
	v_lshl_or_b32 v4, v4, 16, v5
	global_store_dword v[2:3], v4, off
	s_waitcnt lgkmcnt(0)
	v_lshrrev_b32_e32 v10, 16, v8
	s_waitcnt vmcnt(5)
	v_mul_f16_sdwa v5, v10, v13 dst_sel:DWORD dst_unused:UNUSED_PAD src0_sel:DWORD src1_sel:WORD_1
	v_fma_f16 v5, v8, v13, v5
	v_cvt_f32_f16_e32 v5, v5
	v_mul_f16_sdwa v8, v8, v13 dst_sel:DWORD dst_unused:UNUSED_PAD src0_sel:DWORD src1_sel:WORD_1
	v_fma_f16 v8, v13, v10, -v8
	v_cvt_f32_f16_e32 v8, v8
	v_cvt_f64_f32_e32 v[4:5], v5
	v_mul_f64 v[4:5], v[4:5], s[6:7]
	v_and_or_b32 v4, v5, s10, v4
	v_cmp_ne_u32_e32 vcc, 0, v4
	v_lshrrev_b32_e32 v11, 8, v5
	v_bfe_u32 v12, v5, 20, 11
	v_cndmask_b32_e64 v4, 0, 1, vcc
	v_and_or_b32 v4, v11, s14, v4
	v_sub_u32_e32 v16, 0x3f1, v12
	v_or_b32_e32 v11, 0x1000, v4
	v_med3_i32 v16, v16, 0, 13
	v_lshrrev_b32_e32 v17, v16, v11
	v_lshlrev_b32_e32 v16, v16, v17
	v_cmp_ne_u32_e32 vcc, v16, v11
	v_add_u32_e32 v12, 0xfffffc10, v12
	v_lshl_or_b32 v16, v12, 12, v4
	v_cndmask_b32_e64 v11, 0, 1, vcc
	v_or_b32_e32 v11, v17, v11
	v_cmp_gt_i32_e32 vcc, 1, v12
	s_nop 1
	v_cndmask_b32_e32 v11, v16, v11, vcc
	v_and_b32_e32 v16, 7, v11
	v_cmp_lt_i32_e32 vcc, 5, v16
	v_cmp_eq_u32_e64 s[0:1], 3, v16
	v_lshrrev_b32_e32 v11, 2, v11
	s_or_b64 vcc, s[0:1], vcc
	v_addc_co_u32_e32 v11, vcc, 0, v11, vcc
	v_cmp_gt_i32_e32 vcc, 31, v12
	s_nop 1
	v_cndmask_b32_e32 v11, v6, v11, vcc
	v_cmp_ne_u32_e32 vcc, 0, v4
	s_nop 1
	v_cndmask_b32_e64 v4, 0, 1, vcc
	v_lshl_or_b32 v4, v4, 9, v6
	v_cmp_eq_u32_e32 vcc, s15, v12
	s_nop 1
	v_cndmask_b32_e32 v10, v11, v4, vcc
	v_and_b32_sdwa v11, v5, s16 dst_sel:DWORD dst_unused:UNUSED_PAD src0_sel:WORD_1 src1_sel:DWORD
	v_cvt_f64_f32_e32 v[4:5], v8
	v_mul_f64 v[4:5], v[4:5], s[6:7]
	v_and_or_b32 v4, v5, s10, v4
	v_cmp_ne_u32_e32 vcc, 0, v4
	v_lshrrev_b32_e32 v8, 8, v5
	v_bfe_u32 v12, v5, 20, 11
	v_cndmask_b32_e64 v4, 0, 1, vcc
	v_and_or_b32 v4, v8, s14, v4
	v_sub_u32_e32 v13, 0x3f1, v12
	v_or_b32_e32 v8, 0x1000, v4
	v_med3_i32 v13, v13, 0, 13
	v_lshrrev_b32_e32 v16, v13, v8
	v_lshlrev_b32_e32 v13, v13, v16
	v_cmp_ne_u32_e32 vcc, v13, v8
	v_add_u32_e32 v12, 0xfffffc10, v12
	v_lshl_or_b32 v13, v12, 12, v4
	v_cndmask_b32_e64 v8, 0, 1, vcc
	v_or_b32_e32 v8, v16, v8
	v_cmp_gt_i32_e32 vcc, 1, v12
	v_lshrrev_b32_e32 v5, 16, v5
	s_nop 0
	v_cndmask_b32_e32 v8, v13, v8, vcc
	v_and_b32_e32 v13, 7, v8
	v_cmp_lt_i32_e32 vcc, 5, v13
	v_cmp_eq_u32_e64 s[0:1], 3, v13
	v_lshrrev_b32_e32 v8, 2, v8
	s_or_b64 vcc, s[0:1], vcc
	v_addc_co_u32_e32 v8, vcc, 0, v8, vcc
	v_cmp_gt_i32_e32 vcc, 31, v12
	v_mad_u64_u32 v[2:3], s[0:1], s8, v7, v[2:3]
	s_nop 0
	v_cndmask_b32_e32 v8, v6, v8, vcc
	v_cmp_ne_u32_e32 vcc, 0, v4
	v_add_u32_e32 v3, s3, v3
	s_nop 0
	v_cndmask_b32_e64 v4, 0, 1, vcc
	v_lshl_or_b32 v4, v4, 9, v6
	v_cmp_eq_u32_e32 vcc, s15, v12
	s_nop 1
	v_cndmask_b32_e32 v4, v8, v4, vcc
	v_and_or_b32 v4, v5, s16, v4
	v_bitop3_b32 v5, v11, s2, v10 bitop3:0xc8
	v_lshrrev_b32_e32 v8, 16, v9
	v_lshl_or_b32 v4, v4, 16, v5
	s_waitcnt vmcnt(4)
	v_mul_f16_sdwa v5, v8, v14 dst_sel:DWORD dst_unused:UNUSED_PAD src0_sel:DWORD src1_sel:WORD_1
	v_fma_f16 v5, v9, v14, v5
	v_cvt_f32_f16_e32 v5, v5
	global_store_dword v[2:3], v4, off
	v_mul_f16_sdwa v9, v9, v14 dst_sel:DWORD dst_unused:UNUSED_PAD src0_sel:DWORD src1_sel:WORD_1
	v_fma_f16 v8, v14, v8, -v9
	v_cvt_f64_f32_e32 v[4:5], v5
	v_mul_f64 v[4:5], v[4:5], s[6:7]
	v_and_or_b32 v4, v5, s10, v4
	v_cmp_ne_u32_e32 vcc, 0, v4
	v_lshrrev_b32_e32 v10, 8, v5
	v_bfe_u32 v11, v5, 20, 11
	v_cndmask_b32_e64 v4, 0, 1, vcc
	v_and_or_b32 v4, v10, s14, v4
	v_sub_u32_e32 v12, 0x3f1, v11
	v_or_b32_e32 v10, 0x1000, v4
	v_med3_i32 v12, v12, 0, 13
	v_lshrrev_b32_e32 v13, v12, v10
	v_lshlrev_b32_e32 v12, v12, v13
	v_cmp_ne_u32_e32 vcc, v12, v10
	v_add_u32_e32 v11, 0xfffffc10, v11
	v_lshl_or_b32 v12, v11, 12, v4
	v_cndmask_b32_e64 v10, 0, 1, vcc
	v_or_b32_e32 v10, v13, v10
	v_cmp_gt_i32_e32 vcc, 1, v11
	v_cvt_f32_f16_e32 v8, v8
	s_nop 0
	v_cndmask_b32_e32 v10, v12, v10, vcc
	v_and_b32_e32 v12, 7, v10
	v_cmp_lt_i32_e32 vcc, 5, v12
	v_cmp_eq_u32_e64 s[0:1], 3, v12
	v_lshrrev_b32_e32 v10, 2, v10
	s_or_b64 vcc, s[0:1], vcc
	v_addc_co_u32_e32 v10, vcc, 0, v10, vcc
	v_cmp_gt_i32_e32 vcc, 31, v11
	s_nop 1
	v_cndmask_b32_e32 v10, v6, v10, vcc
	v_cmp_ne_u32_e32 vcc, 0, v4
	s_nop 1
	v_cndmask_b32_e64 v4, 0, 1, vcc
	v_lshl_or_b32 v4, v4, 9, v6
	v_cmp_eq_u32_e32 vcc, s15, v11
	v_and_b32_sdwa v11, v5, s16 dst_sel:DWORD dst_unused:UNUSED_PAD src0_sel:WORD_1 src1_sel:DWORD
	s_nop 0
	v_cndmask_b32_e32 v10, v10, v4, vcc
	v_cvt_f64_f32_e32 v[4:5], v8
	v_mul_f64 v[4:5], v[4:5], s[6:7]
	v_and_or_b32 v4, v5, s10, v4
	v_cmp_ne_u32_e32 vcc, 0, v4
	v_lshrrev_b32_e32 v8, 8, v5
	v_bfe_u32 v9, v5, 20, 11
	v_cndmask_b32_e64 v4, 0, 1, vcc
	v_and_or_b32 v4, v8, s14, v4
	v_sub_u32_e32 v12, 0x3f1, v9
	v_or_b32_e32 v8, 0x1000, v4
	v_med3_i32 v12, v12, 0, 13
	v_lshrrev_b32_e32 v13, v12, v8
	v_lshlrev_b32_e32 v12, v12, v13
	v_cmp_ne_u32_e32 vcc, v12, v8
	v_add_u32_e32 v9, 0xfffffc10, v9
	v_lshl_or_b32 v12, v9, 12, v4
	v_cndmask_b32_e64 v8, 0, 1, vcc
	v_or_b32_e32 v8, v13, v8
	v_cmp_gt_i32_e32 vcc, 1, v9
	v_lshrrev_b32_e32 v5, 16, v5
	s_nop 0
	v_cndmask_b32_e32 v8, v12, v8, vcc
	v_and_b32_e32 v12, 7, v8
	v_cmp_lt_i32_e32 vcc, 5, v12
	v_cmp_eq_u32_e64 s[0:1], 3, v12
	v_lshrrev_b32_e32 v8, 2, v8
	s_or_b64 vcc, s[0:1], vcc
	v_addc_co_u32_e32 v8, vcc, 0, v8, vcc
	v_cmp_gt_i32_e32 vcc, 31, v9
	v_mad_u64_u32 v[2:3], s[0:1], s8, v7, v[2:3]
	s_nop 0
	v_cndmask_b32_e32 v8, v6, v8, vcc
	v_cmp_ne_u32_e32 vcc, 0, v4
	v_add_u32_e32 v3, s3, v3
	s_nop 0
	v_cndmask_b32_e64 v4, 0, 1, vcc
	v_lshl_or_b32 v4, v4, 9, v6
	v_cmp_eq_u32_e32 vcc, s15, v9
	s_nop 1
	v_cndmask_b32_e32 v4, v8, v4, vcc
	v_add_u32_e32 v8, 0xe00, v24
	ds_read2_b32 v[8:9], v8 offset0:72 offset1:160
	v_and_or_b32 v4, v5, s16, v4
	v_bitop3_b32 v5, v11, s2, v10 bitop3:0xc8
	v_lshl_or_b32 v4, v4, 16, v5
	global_store_dword v[2:3], v4, off
	s_waitcnt lgkmcnt(0)
	v_lshrrev_b32_e32 v10, 16, v8
	s_waitcnt vmcnt(5)
	v_mul_f16_sdwa v5, v10, v15 dst_sel:DWORD dst_unused:UNUSED_PAD src0_sel:DWORD src1_sel:WORD_1
	v_fma_f16 v5, v8, v15, v5
	v_cvt_f32_f16_e32 v5, v5
	v_mul_f16_sdwa v8, v8, v15 dst_sel:DWORD dst_unused:UNUSED_PAD src0_sel:DWORD src1_sel:WORD_1
	v_fma_f16 v8, v15, v10, -v8
	v_cvt_f32_f16_e32 v8, v8
	v_cvt_f64_f32_e32 v[4:5], v5
	v_mul_f64 v[4:5], v[4:5], s[6:7]
	v_and_or_b32 v4, v5, s10, v4
	v_cmp_ne_u32_e32 vcc, 0, v4
	v_lshrrev_b32_e32 v11, 8, v5
	v_bfe_u32 v12, v5, 20, 11
	v_cndmask_b32_e64 v4, 0, 1, vcc
	v_and_or_b32 v4, v11, s14, v4
	v_sub_u32_e32 v13, 0x3f1, v12
	v_or_b32_e32 v11, 0x1000, v4
	v_med3_i32 v13, v13, 0, 13
	v_lshrrev_b32_e32 v14, v13, v11
	v_lshlrev_b32_e32 v13, v13, v14
	v_cmp_ne_u32_e32 vcc, v13, v11
	v_add_u32_e32 v12, 0xfffffc10, v12
	v_lshl_or_b32 v13, v12, 12, v4
	v_cndmask_b32_e64 v11, 0, 1, vcc
	v_or_b32_e32 v11, v14, v11
	v_cmp_gt_i32_e32 vcc, 1, v12
	s_nop 1
	v_cndmask_b32_e32 v11, v13, v11, vcc
	v_and_b32_e32 v13, 7, v11
	v_cmp_lt_i32_e32 vcc, 5, v13
	v_cmp_eq_u32_e64 s[0:1], 3, v13
	v_lshrrev_b32_e32 v11, 2, v11
	s_or_b64 vcc, s[0:1], vcc
	v_addc_co_u32_e32 v11, vcc, 0, v11, vcc
	v_cmp_gt_i32_e32 vcc, 31, v12
	s_nop 1
	v_cndmask_b32_e32 v11, v6, v11, vcc
	v_cmp_ne_u32_e32 vcc, 0, v4
	s_nop 1
	v_cndmask_b32_e64 v4, 0, 1, vcc
	v_lshl_or_b32 v4, v4, 9, v6
	v_cmp_eq_u32_e32 vcc, s15, v12
	s_nop 1
	v_cndmask_b32_e32 v10, v11, v4, vcc
	v_and_b32_sdwa v11, v5, s16 dst_sel:DWORD dst_unused:UNUSED_PAD src0_sel:WORD_1 src1_sel:DWORD
	v_cvt_f64_f32_e32 v[4:5], v8
	v_mul_f64 v[4:5], v[4:5], s[6:7]
	v_and_or_b32 v4, v5, s10, v4
	v_cmp_ne_u32_e32 vcc, 0, v4
	v_lshrrev_b32_e32 v8, 8, v5
	v_bfe_u32 v12, v5, 20, 11
	v_cndmask_b32_e64 v4, 0, 1, vcc
	v_and_or_b32 v4, v8, s14, v4
	v_sub_u32_e32 v13, 0x3f1, v12
	v_or_b32_e32 v8, 0x1000, v4
	v_med3_i32 v13, v13, 0, 13
	v_lshrrev_b32_e32 v14, v13, v8
	v_lshlrev_b32_e32 v13, v13, v14
	v_cmp_ne_u32_e32 vcc, v13, v8
	v_add_u32_e32 v12, 0xfffffc10, v12
	v_lshl_or_b32 v13, v12, 12, v4
	v_cndmask_b32_e64 v8, 0, 1, vcc
	v_or_b32_e32 v8, v14, v8
	v_cmp_gt_i32_e32 vcc, 1, v12
	v_lshrrev_b32_e32 v5, 16, v5
	s_nop 0
	v_cndmask_b32_e32 v8, v13, v8, vcc
	v_and_b32_e32 v13, 7, v8
	v_cmp_lt_i32_e32 vcc, 5, v13
	v_cmp_eq_u32_e64 s[0:1], 3, v13
	v_lshrrev_b32_e32 v8, 2, v8
	s_or_b64 vcc, s[0:1], vcc
	v_addc_co_u32_e32 v8, vcc, 0, v8, vcc
	v_cmp_gt_i32_e32 vcc, 31, v12
	v_mad_u64_u32 v[2:3], s[0:1], s8, v7, v[2:3]
	s_nop 0
	v_cndmask_b32_e32 v8, v6, v8, vcc
	v_cmp_ne_u32_e32 vcc, 0, v4
	v_add_u32_e32 v3, s3, v3
	s_nop 0
	v_cndmask_b32_e64 v4, 0, 1, vcc
	v_lshl_or_b32 v4, v4, 9, v6
	v_cmp_eq_u32_e32 vcc, s15, v12
	s_nop 1
	v_cndmask_b32_e32 v4, v8, v4, vcc
	v_and_or_b32 v4, v5, s16, v4
	v_bitop3_b32 v5, v11, s2, v10 bitop3:0xc8
	v_lshl_or_b32 v4, v4, 16, v5
	v_add_co_u32_e32 v0, vcc, s17, v0
	global_store_dword v[2:3], v4, off
	s_nop 0
	v_addc_co_u32_e32 v1, vcc, 0, v1, vcc
	global_load_dword v4, v[0:1], off offset:128
	v_lshrrev_b32_e32 v5, 16, v9
	s_waitcnt vmcnt(0)
	v_mul_f16_sdwa v0, v5, v4 dst_sel:DWORD dst_unused:UNUSED_PAD src0_sel:DWORD src1_sel:WORD_1
	v_fma_f16 v0, v9, v4, v0
	v_cvt_f32_f16_e32 v0, v0
	v_mul_f16_sdwa v9, v9, v4 dst_sel:DWORD dst_unused:UNUSED_PAD src0_sel:DWORD src1_sel:WORD_1
	v_fma_f16 v4, v4, v5, -v9
	v_cvt_f32_f16_e32 v4, v4
	v_cvt_f64_f32_e32 v[0:1], v0
	v_mul_f64 v[0:1], v[0:1], s[6:7]
	v_and_or_b32 v0, v1, s10, v0
	v_cmp_ne_u32_e32 vcc, 0, v0
	v_lshrrev_b32_e32 v8, 8, v1
	v_bfe_u32 v10, v1, 20, 11
	v_cndmask_b32_e64 v0, 0, 1, vcc
	v_and_or_b32 v0, v8, s14, v0
	v_sub_u32_e32 v11, 0x3f1, v10
	v_or_b32_e32 v8, 0x1000, v0
	v_med3_i32 v11, v11, 0, 13
	v_lshrrev_b32_e32 v12, v11, v8
	v_lshlrev_b32_e32 v11, v11, v12
	v_cmp_ne_u32_e32 vcc, v11, v8
	v_add_u32_e32 v10, 0xfffffc10, v10
	v_lshl_or_b32 v11, v10, 12, v0
	v_cndmask_b32_e64 v8, 0, 1, vcc
	v_or_b32_e32 v8, v12, v8
	v_cmp_gt_i32_e32 vcc, 1, v10
	s_nop 1
	v_cndmask_b32_e32 v8, v11, v8, vcc
	v_and_b32_e32 v11, 7, v8
	v_cmp_lt_i32_e32 vcc, 5, v11
	v_cmp_eq_u32_e64 s[0:1], 3, v11
	v_lshrrev_b32_e32 v8, 2, v8
	s_or_b64 vcc, s[0:1], vcc
	v_addc_co_u32_e32 v8, vcc, 0, v8, vcc
	v_cmp_gt_i32_e32 vcc, 31, v10
	s_nop 1
	v_cndmask_b32_e32 v8, v6, v8, vcc
	v_cmp_ne_u32_e32 vcc, 0, v0
	s_nop 1
	v_cndmask_b32_e64 v0, 0, 1, vcc
	v_lshl_or_b32 v0, v0, 9, v6
	v_cmp_eq_u32_e32 vcc, s15, v10
	s_nop 1
	v_cndmask_b32_e32 v5, v8, v0, vcc
	v_and_b32_sdwa v8, v1, s16 dst_sel:DWORD dst_unused:UNUSED_PAD src0_sel:WORD_1 src1_sel:DWORD
	v_cvt_f64_f32_e32 v[0:1], v4
	v_mul_f64 v[0:1], v[0:1], s[6:7]
	v_and_or_b32 v0, v1, s10, v0
	v_cmp_ne_u32_e32 vcc, 0, v0
	v_lshrrev_b32_e32 v4, 8, v1
	v_bfe_u32 v9, v1, 20, 11
	v_cndmask_b32_e64 v0, 0, 1, vcc
	v_and_or_b32 v0, v4, s14, v0
	v_sub_u32_e32 v10, 0x3f1, v9
	v_or_b32_e32 v4, 0x1000, v0
	v_med3_i32 v10, v10, 0, 13
	v_lshrrev_b32_e32 v11, v10, v4
	v_lshlrev_b32_e32 v10, v10, v11
	v_cmp_ne_u32_e32 vcc, v10, v4
	v_add_u32_e32 v9, 0xfffffc10, v9
	v_lshl_or_b32 v10, v9, 12, v0
	v_cndmask_b32_e64 v4, 0, 1, vcc
	v_or_b32_e32 v4, v11, v4
	v_cmp_gt_i32_e32 vcc, 1, v9
	v_lshrrev_b32_e32 v1, 16, v1
	s_nop 0
	v_cndmask_b32_e32 v4, v10, v4, vcc
	v_and_b32_e32 v10, 7, v4
	v_cmp_lt_i32_e32 vcc, 5, v10
	v_cmp_eq_u32_e64 s[0:1], 3, v10
	v_lshrrev_b32_e32 v4, 2, v4
	s_or_b64 vcc, s[0:1], vcc
	v_addc_co_u32_e32 v4, vcc, 0, v4, vcc
	v_cmp_gt_i32_e32 vcc, 31, v9
	s_nop 1
	v_cndmask_b32_e32 v4, v6, v4, vcc
	v_cmp_ne_u32_e32 vcc, 0, v0
	s_nop 1
	v_cndmask_b32_e64 v0, 0, 1, vcc
	v_lshl_or_b32 v0, v0, 9, v6
	v_cmp_eq_u32_e32 vcc, s15, v9
	s_nop 1
	v_cndmask_b32_e32 v0, v4, v0, vcc
	v_and_or_b32 v0, v1, s16, v0
	v_bitop3_b32 v1, v8, s2, v5 bitop3:0xc8
	v_lshl_or_b32 v4, v0, 16, v1
	v_mad_u64_u32 v[0:1], s[0:1], s8, v7, v[2:3]
	v_add_u32_e32 v1, s3, v1
	global_store_dword v[0:1], v4, off
.LBB0_23:
	s_endpgm
	.section	.rodata,"a",@progbits
	.p2align	6, 0x0
	.amdhsa_kernel bluestein_single_back_len1144_dim1_half_op_CI_CI
		.amdhsa_group_segment_fixed_size 4576
		.amdhsa_private_segment_fixed_size 0
		.amdhsa_kernarg_size 104
		.amdhsa_user_sgpr_count 2
		.amdhsa_user_sgpr_dispatch_ptr 0
		.amdhsa_user_sgpr_queue_ptr 0
		.amdhsa_user_sgpr_kernarg_segment_ptr 1
		.amdhsa_user_sgpr_dispatch_id 0
		.amdhsa_user_sgpr_kernarg_preload_length 0
		.amdhsa_user_sgpr_kernarg_preload_offset 0
		.amdhsa_user_sgpr_private_segment_size 0
		.amdhsa_uses_dynamic_stack 0
		.amdhsa_enable_private_segment 0
		.amdhsa_system_sgpr_workgroup_id_x 1
		.amdhsa_system_sgpr_workgroup_id_y 0
		.amdhsa_system_sgpr_workgroup_id_z 0
		.amdhsa_system_sgpr_workgroup_info 0
		.amdhsa_system_vgpr_workitem_id 0
		.amdhsa_next_free_vgpr 182
		.amdhsa_next_free_sgpr 30
		.amdhsa_accum_offset 184
		.amdhsa_reserve_vcc 1
		.amdhsa_float_round_mode_32 0
		.amdhsa_float_round_mode_16_64 0
		.amdhsa_float_denorm_mode_32 3
		.amdhsa_float_denorm_mode_16_64 3
		.amdhsa_dx10_clamp 1
		.amdhsa_ieee_mode 1
		.amdhsa_fp16_overflow 0
		.amdhsa_tg_split 0
		.amdhsa_exception_fp_ieee_invalid_op 0
		.amdhsa_exception_fp_denorm_src 0
		.amdhsa_exception_fp_ieee_div_zero 0
		.amdhsa_exception_fp_ieee_overflow 0
		.amdhsa_exception_fp_ieee_underflow 0
		.amdhsa_exception_fp_ieee_inexact 0
		.amdhsa_exception_int_div_zero 0
	.end_amdhsa_kernel
	.text
.Lfunc_end0:
	.size	bluestein_single_back_len1144_dim1_half_op_CI_CI, .Lfunc_end0-bluestein_single_back_len1144_dim1_half_op_CI_CI
                                        ; -- End function
	.section	.AMDGPU.csdata,"",@progbits
; Kernel info:
; codeLenInByte = 23876
; NumSgprs: 36
; NumVgprs: 182
; NumAgprs: 0
; TotalNumVgprs: 182
; ScratchSize: 0
; MemoryBound: 0
; FloatMode: 240
; IeeeMode: 1
; LDSByteSize: 4576 bytes/workgroup (compile time only)
; SGPRBlocks: 4
; VGPRBlocks: 22
; NumSGPRsForWavesPerEU: 36
; NumVGPRsForWavesPerEU: 182
; AccumOffset: 184
; Occupancy: 2
; WaveLimiterHint : 1
; COMPUTE_PGM_RSRC2:SCRATCH_EN: 0
; COMPUTE_PGM_RSRC2:USER_SGPR: 2
; COMPUTE_PGM_RSRC2:TRAP_HANDLER: 0
; COMPUTE_PGM_RSRC2:TGID_X_EN: 1
; COMPUTE_PGM_RSRC2:TGID_Y_EN: 0
; COMPUTE_PGM_RSRC2:TGID_Z_EN: 0
; COMPUTE_PGM_RSRC2:TIDIG_COMP_CNT: 0
; COMPUTE_PGM_RSRC3_GFX90A:ACCUM_OFFSET: 45
; COMPUTE_PGM_RSRC3_GFX90A:TG_SPLIT: 0
	.text
	.p2alignl 6, 3212836864
	.fill 256, 4, 3212836864
	.type	__hip_cuid_78f8b3b980965a05,@object ; @__hip_cuid_78f8b3b980965a05
	.section	.bss,"aw",@nobits
	.globl	__hip_cuid_78f8b3b980965a05
__hip_cuid_78f8b3b980965a05:
	.byte	0                               ; 0x0
	.size	__hip_cuid_78f8b3b980965a05, 1

	.ident	"AMD clang version 19.0.0git (https://github.com/RadeonOpenCompute/llvm-project roc-6.4.0 25133 c7fe45cf4b819c5991fe208aaa96edf142730f1d)"
	.section	".note.GNU-stack","",@progbits
	.addrsig
	.addrsig_sym __hip_cuid_78f8b3b980965a05
	.amdgpu_metadata
---
amdhsa.kernels:
  - .agpr_count:     0
    .args:
      - .actual_access:  read_only
        .address_space:  global
        .offset:         0
        .size:           8
        .value_kind:     global_buffer
      - .actual_access:  read_only
        .address_space:  global
        .offset:         8
        .size:           8
        .value_kind:     global_buffer
      - .actual_access:  read_only
        .address_space:  global
        .offset:         16
        .size:           8
        .value_kind:     global_buffer
      - .actual_access:  read_only
        .address_space:  global
        .offset:         24
        .size:           8
        .value_kind:     global_buffer
      - .actual_access:  read_only
        .address_space:  global
        .offset:         32
        .size:           8
        .value_kind:     global_buffer
      - .offset:         40
        .size:           8
        .value_kind:     by_value
      - .address_space:  global
        .offset:         48
        .size:           8
        .value_kind:     global_buffer
      - .address_space:  global
        .offset:         56
        .size:           8
        .value_kind:     global_buffer
      - .address_space:  global
        .offset:         64
        .size:           8
        .value_kind:     global_buffer
      - .address_space:  global
        .offset:         72
        .size:           8
        .value_kind:     global_buffer
      - .offset:         80
        .size:           4
        .value_kind:     by_value
      - .address_space:  global
        .offset:         88
        .size:           8
        .value_kind:     global_buffer
      - .address_space:  global
        .offset:         96
        .size:           8
        .value_kind:     global_buffer
    .group_segment_fixed_size: 4576
    .kernarg_segment_align: 8
    .kernarg_segment_size: 104
    .language:       OpenCL C
    .language_version:
      - 2
      - 0
    .max_flat_workgroup_size: 104
    .name:           bluestein_single_back_len1144_dim1_half_op_CI_CI
    .private_segment_fixed_size: 0
    .sgpr_count:     36
    .sgpr_spill_count: 0
    .symbol:         bluestein_single_back_len1144_dim1_half_op_CI_CI.kd
    .uniform_work_group_size: 1
    .uses_dynamic_stack: false
    .vgpr_count:     182
    .vgpr_spill_count: 0
    .wavefront_size: 64
amdhsa.target:   amdgcn-amd-amdhsa--gfx950
amdhsa.version:
  - 1
  - 2
...

	.end_amdgpu_metadata
